;; amdgpu-corpus repo=linkedin/Liger-Kernel kind=triton arch=gfx950 opt=O3 lang=triton
	.amdgcn_target "amdgcn-amd-amdhsa--gfx950"
	.amdhsa_code_object_version 5
	.text
	.globl	liger_cross_entropy_kernel      ; -- Begin function liger_cross_entropy_kernel
	.p2align	8
	.type	liger_cross_entropy_kernel,@function
liger_cross_entropy_kernel:             ; @liger_cross_entropy_kernel
.Lfunc_begin0:
	.cfi_sections .debug_frame
	.cfi_startproc
; %bb.156:
	.file	1 "/root/src/amdgpu-assembly/repos/linkedin__Liger-Kernel/triton_aot_kernels" "cross_entropy_aot.py"
	.loc	1 10 0 prologue_end             ; cross_entropy_aot.py:10:0
	s_load_dwordx2 s[2:3], s[0:1], 0x0
	s_load_dwordx8 s[4:11], s[0:1], 0x8
	s_load_dwordx4 s[12:15], s[0:1], 0x28
	s_waitcnt lgkmcnt(0)
	s_branch .LBB0_0
	.loc	1 0 0 is_stmt 0                 ; :0:0
.Ltmp0:
	.p2align	8
; %bb.157:
.LBB0_0:
	s_load_dword s10, s[0:1], 0x6c
	s_load_dword s17, s[0:1], 0x5c
.Ltmp1:
	.loc	1 77 26 is_stmt 1               ; cross_entropy_aot.py:77:26
	s_mul_hi_i32 s9, s8, s16
	s_mul_i32 s8, s8, s16
	.loc	1 77 13 is_stmt 0               ; cross_entropy_aot.py:77:13
	s_lshl_b64 s[8:9], s[8:9], 3
	s_waitcnt lgkmcnt(0)
	s_ashr_i32 s11, s10, 31
	s_add_u32 s6, s6, s8
	s_addc_u32 s7, s7, s9
	.loc	1 78 16 is_stmt 1               ; cross_entropy_aot.py:78:16
	s_load_dwordx2 s[38:39], s[6:7], 0x0
	.loc	1 81 26                         ; cross_entropy_aot.py:81:26
	s_mul_hi_i32 s5, s4, s16
	s_mul_i32 s4, s4, s16
	.loc	1 81 13 is_stmt 0               ; cross_entropy_aot.py:81:13
	s_lshl_b64 s[4:5], s[4:5], 2
	s_add_u32 s36, s2, s4
	s_addc_u32 s37, s3, s5
	.loc	1 274 23 is_stmt 1              ; cross_entropy_aot.py:274:23
	v_readfirstlane_b32 s33, v0
	.loc	1 83 12                         ; cross_entropy_aot.py:83:12
	s_waitcnt lgkmcnt(0)
	s_cmp_lg_u64 s[38:39], s[10:11]
	s_mov_b64 s[2:3], -1
	s_cbranch_scc0 .LBB0_119
; %bb.1:
	.loc	1 0 0 is_stmt 0                 ; cross_entropy_aot.py:0
	s_lshl_b64 s[2:3], s[38:39], 2
	s_add_u32 s2, s36, s2
	s_addc_u32 s3, s37, s3
	.loc	1 115 22 is_stmt 1              ; cross_entropy_aot.py:115:22
	s_load_dword s44, s[2:3], 0x0
	.loc	1 125 37                        ; cross_entropy_aot.py:125:37
	s_and_b32 s2, s33, 0x1c0
	v_and_b32_e32 v1, 63, v0
	.loc	1 124 30                        ; cross_entropy_aot.py:124:30
	s_cmp_gt_i32 s17, 0
	.loc	1 125 37                        ; cross_entropy_aot.py:125:37
	v_or_b32_e32 v2, s2, v1
	s_mov_b32 s10, 0
	.loc	1 124 30                        ; cross_entropy_aot.py:124:30
	s_cselect_b64 s[8:9], -1, 0
	s_cmp_lt_i32 s17, 1
	v_add_u32_e32 v68, s2, v1
	s_cbranch_scc1 .LBB0_48
; %bb.2:                                ; %.lr.ph
	.loc	1 0 30 is_stmt 0                ; cross_entropy_aot.py:0:30
	s_lshr_b32 s2, s33, 4
	s_and_b32 s2, s2, 28
	v_and_b32_e32 v3, 7, v0
	s_add_i32 s18, s2, 0
	v_cmp_gt_u32_e64 s[2:3], 8, v0
	v_cmp_eq_u32_e64 s[4:5], 0, v3
	v_mov_b32_e32 v3, 0
	v_cmp_eq_u32_e32 vcc, 0, v1
	v_lshl_add_u32 v8, v0, 2, 0
	s_and_b64 s[14:15], s[2:3], s[4:5]
	v_mov_b32_e32 v12, 0xff800000
	s_mov_b32 s19, 0xc2fc0000
	v_mov_b32_e32 v9, 0x42800000
	v_not_b32_e32 v10, 63
	v_mov_b32_e32 v11, v3
	s_branch .LBB0_4
.LBB0_3:                                ;   in Loop: Header=BB0_4 Depth=1
	s_or_b64 exec, exec, s[4:5]
	.loc	1 156 27 is_stmt 1              ; cross_entropy_aot.py:156:27
	v_sub_f32_e32 v4, v12, v69
	.loc	1 156 23 is_stmt 0              ; cross_entropy_aot.py:156:23
	v_mul_f32_e32 v5, 0x3fb8aa3b, v4
	v_cmp_gt_f32_e64 s[4:5], s19, v5
.Ltmp2:
	.file	2 "/root/.local/lib/python3.13/site-packages/triton/language" "standard.py"
	.loc	2 293 36 is_stmt 1              ; standard.py:293:36 @[ cross_entropy_aot.py:156:43 ]
	s_waitcnt lgkmcnt(0)
	s_barrier
.Ltmp3:
	.loc	1 156 23                        ; cross_entropy_aot.py:156:23
	v_cndmask_b32_e64 v5, 0, v9, s[4:5]
	v_fmac_f32_e32 v5, 0x3fb8aa3b, v4
	v_exp_f32_e32 v4, v5
.Ltmp4:
	.loc	2 293 36                        ; standard.py:293:36 @[ cross_entropy_aot.py:156:43 ]
	ds_read_b32 v70, v3
.Ltmp5:
	.loc	1 156 23                        ; cross_entropy_aot.py:156:23
	s_and_b64 s[4:5], s[4:5], exec
	s_cselect_b32 s4, 0xffffffc0, 0
	v_ldexp_f32 v4, v4, s4
	.loc	1 124 30                        ; cross_entropy_aot.py:124:30
	s_addk_i32 s10, 0x2000
	.loc	1 156 36                        ; cross_entropy_aot.py:156:36
	s_waitcnt lgkmcnt(0)
	v_fmac_f32_e32 v70, v11, v4
	.loc	1 124 30                        ; cross_entropy_aot.py:124:30
	s_cmp_lt_i32 s10, s17
	v_mov_b32_e32 v11, v70
	v_mov_b32_e32 v12, v69
	s_cbranch_scc0 .LBB0_49
.LBB0_4:                                ; =>This Inner Loop Header: Depth=1
	.loc	1 125 24                        ; cross_entropy_aot.py:125:24
	v_add_u32_e32 v4, s10, v68
	.loc	1 127 12                        ; cross_entropy_aot.py:127:12
	v_mov_b32_e32 v13, 0xff800000
	.loc	1 128 29                        ; cross_entropy_aot.py:128:29
	v_cmp_gt_i32_e64 s[4:5], s17, v4
	v_mov_b32_e32 v14, v13
	.loc	1 127 12                        ; cross_entropy_aot.py:127:12
	s_and_saveexec_b64 s[6:7], s[4:5]
	s_cbranch_execz .LBB0_6
; %bb.5:                                ;   in Loop: Header=BB0_4 Depth=1
	.loc	1 0 12 is_stmt 0                ; cross_entropy_aot.py:0:12
	v_ashrrev_i32_e32 v5, 31, v4
	v_lshl_add_u64 v[6:7], v[4:5], 2, s[36:37]
	.loc	1 127 12                        ; cross_entropy_aot.py:127:12
	global_load_dword v14, v[6:7], off
.LBB0_6:                                ;   in Loop: Header=BB0_4 Depth=1
	.loc	1 0 12                          ; cross_entropy_aot.py:0:12
	s_or_b64 exec, exec, s[6:7]
	.loc	1 125 24 is_stmt 1              ; cross_entropy_aot.py:125:24
	v_add_u32_e32 v5, 0x200, v4
	.loc	1 128 29                        ; cross_entropy_aot.py:128:29
	v_cmp_gt_i32_e64 s[4:5], s17, v5
	.loc	1 127 12                        ; cross_entropy_aot.py:127:12
	s_and_saveexec_b64 s[6:7], s[4:5]
	s_cbranch_execz .LBB0_8
; %bb.7:                                ;   in Loop: Header=BB0_4 Depth=1
	.loc	1 127 20 is_stmt 0              ; cross_entropy_aot.py:127:20
	s_ashr_i32 s11, s10, 31
	v_lshl_add_u64 v[6:7], s[10:11], 0, v[2:3]
	v_lshl_add_u64 v[6:7], v[6:7], 2, s[36:37]
	.loc	1 127 12                        ; cross_entropy_aot.py:127:12
	global_load_dword v13, v[6:7], off offset:2048
.LBB0_8:                                ;   in Loop: Header=BB0_4 Depth=1
	.loc	1 0 12                          ; cross_entropy_aot.py:0:12
	s_or_b64 exec, exec, s[6:7]
	.loc	1 125 24 is_stmt 1              ; cross_entropy_aot.py:125:24
	v_add_u32_e32 v6, 0x400, v4
	.loc	1 127 12                        ; cross_entropy_aot.py:127:12
	v_mov_b32_e32 v15, 0xff800000
	.loc	1 128 29                        ; cross_entropy_aot.py:128:29
	v_cmp_gt_i32_e64 s[4:5], s17, v6
	v_mov_b32_e32 v16, v15
	.loc	1 127 12                        ; cross_entropy_aot.py:127:12
	s_and_saveexec_b64 s[6:7], s[4:5]
	s_cbranch_execz .LBB0_10
; %bb.9:                                ;   in Loop: Header=BB0_4 Depth=1
	.loc	1 127 20 is_stmt 0              ; cross_entropy_aot.py:127:20
	v_ashrrev_i32_e32 v7, 31, v6
	v_lshl_add_u64 v[6:7], v[6:7], 2, s[36:37]
	.loc	1 127 12                        ; cross_entropy_aot.py:127:12
	global_load_dword v16, v[6:7], off
.LBB0_10:                               ;   in Loop: Header=BB0_4 Depth=1
	.loc	1 0 12                          ; cross_entropy_aot.py:0:12
	s_or_b64 exec, exec, s[6:7]
	.loc	1 125 24 is_stmt 1              ; cross_entropy_aot.py:125:24
	v_add_u32_e32 v6, 0x600, v4
	.loc	1 128 29                        ; cross_entropy_aot.py:128:29
	v_cmp_gt_i32_e64 s[4:5], s17, v6
	.loc	1 127 12                        ; cross_entropy_aot.py:127:12
	s_and_saveexec_b64 s[6:7], s[4:5]
	s_cbranch_execz .LBB0_12
; %bb.11:                               ;   in Loop: Header=BB0_4 Depth=1
	.loc	1 127 20 is_stmt 0              ; cross_entropy_aot.py:127:20
	v_ashrrev_i32_e32 v7, 31, v6
	v_lshl_add_u64 v[6:7], v[6:7], 2, s[36:37]
	.loc	1 127 12                        ; cross_entropy_aot.py:127:12
	global_load_dword v15, v[6:7], off
.LBB0_12:                               ;   in Loop: Header=BB0_4 Depth=1
	.loc	1 0 12                          ; cross_entropy_aot.py:0:12
	s_or_b64 exec, exec, s[6:7]
	.loc	1 125 24 is_stmt 1              ; cross_entropy_aot.py:125:24
	v_add_u32_e32 v6, 0x800, v4
	.loc	1 127 12                        ; cross_entropy_aot.py:127:12
	v_mov_b32_e32 v17, 0xff800000
	.loc	1 128 29                        ; cross_entropy_aot.py:128:29
	v_cmp_gt_i32_e64 s[4:5], s17, v6
	v_mov_b32_e32 v18, v17
	.loc	1 127 12                        ; cross_entropy_aot.py:127:12
	s_and_saveexec_b64 s[6:7], s[4:5]
	s_cbranch_execz .LBB0_14
; %bb.13:                               ;   in Loop: Header=BB0_4 Depth=1
	.loc	1 127 20 is_stmt 0              ; cross_entropy_aot.py:127:20
	v_ashrrev_i32_e32 v7, 31, v6
	v_lshl_add_u64 v[6:7], v[6:7], 2, s[36:37]
	.loc	1 127 12                        ; cross_entropy_aot.py:127:12
	global_load_dword v18, v[6:7], off
.LBB0_14:                               ;   in Loop: Header=BB0_4 Depth=1
	.loc	1 0 12                          ; cross_entropy_aot.py:0:12
	s_or_b64 exec, exec, s[6:7]
	.loc	1 125 24 is_stmt 1              ; cross_entropy_aot.py:125:24
	v_add_u32_e32 v6, 0xa00, v4
	.loc	1 128 29                        ; cross_entropy_aot.py:128:29
	v_cmp_gt_i32_e64 s[4:5], s17, v6
	.loc	1 127 12                        ; cross_entropy_aot.py:127:12
	s_and_saveexec_b64 s[6:7], s[4:5]
	s_cbranch_execz .LBB0_16
; %bb.15:                               ;   in Loop: Header=BB0_4 Depth=1
	.loc	1 127 20 is_stmt 0              ; cross_entropy_aot.py:127:20
	v_ashrrev_i32_e32 v7, 31, v6
	v_lshl_add_u64 v[6:7], v[6:7], 2, s[36:37]
	.loc	1 127 12                        ; cross_entropy_aot.py:127:12
	global_load_dword v17, v[6:7], off
.LBB0_16:                               ;   in Loop: Header=BB0_4 Depth=1
	.loc	1 0 12                          ; cross_entropy_aot.py:0:12
	s_or_b64 exec, exec, s[6:7]
	.loc	1 125 24 is_stmt 1              ; cross_entropy_aot.py:125:24
	v_add_u32_e32 v6, 0xc00, v4
	.loc	1 127 12                        ; cross_entropy_aot.py:127:12
	v_mov_b32_e32 v19, 0xff800000
	.loc	1 128 29                        ; cross_entropy_aot.py:128:29
	v_cmp_gt_i32_e64 s[4:5], s17, v6
	v_mov_b32_e32 v20, v19
	.loc	1 127 12                        ; cross_entropy_aot.py:127:12
	s_and_saveexec_b64 s[6:7], s[4:5]
	s_cbranch_execz .LBB0_18
; %bb.17:                               ;   in Loop: Header=BB0_4 Depth=1
	.loc	1 127 20 is_stmt 0              ; cross_entropy_aot.py:127:20
	v_ashrrev_i32_e32 v7, 31, v6
	v_lshl_add_u64 v[6:7], v[6:7], 2, s[36:37]
	.loc	1 127 12                        ; cross_entropy_aot.py:127:12
	global_load_dword v20, v[6:7], off
.LBB0_18:                               ;   in Loop: Header=BB0_4 Depth=1
	.loc	1 0 12                          ; cross_entropy_aot.py:0:12
	s_or_b64 exec, exec, s[6:7]
	.loc	1 125 24 is_stmt 1              ; cross_entropy_aot.py:125:24
	v_add_u32_e32 v6, 0xe00, v4
	.loc	1 128 29                        ; cross_entropy_aot.py:128:29
	v_cmp_gt_i32_e64 s[4:5], s17, v6
	.loc	1 127 12                        ; cross_entropy_aot.py:127:12
	s_and_saveexec_b64 s[6:7], s[4:5]
	s_cbranch_execz .LBB0_20
; %bb.19:                               ;   in Loop: Header=BB0_4 Depth=1
	.loc	1 127 20 is_stmt 0              ; cross_entropy_aot.py:127:20
	v_ashrrev_i32_e32 v7, 31, v6
	v_lshl_add_u64 v[6:7], v[6:7], 2, s[36:37]
	.loc	1 127 12                        ; cross_entropy_aot.py:127:12
	global_load_dword v19, v[6:7], off
.LBB0_20:                               ;   in Loop: Header=BB0_4 Depth=1
	.loc	1 0 12                          ; cross_entropy_aot.py:0:12
	s_or_b64 exec, exec, s[6:7]
	.loc	1 125 24 is_stmt 1              ; cross_entropy_aot.py:125:24
	v_add_u32_e32 v6, 0x1000, v4
	.loc	1 127 12                        ; cross_entropy_aot.py:127:12
	v_mov_b32_e32 v21, 0xff800000
	.loc	1 128 29                        ; cross_entropy_aot.py:128:29
	v_cmp_gt_i32_e64 s[4:5], s17, v6
	v_mov_b32_e32 v22, v21
	.loc	1 127 12                        ; cross_entropy_aot.py:127:12
	s_and_saveexec_b64 s[6:7], s[4:5]
	s_cbranch_execz .LBB0_22
; %bb.21:                               ;   in Loop: Header=BB0_4 Depth=1
	.loc	1 127 20 is_stmt 0              ; cross_entropy_aot.py:127:20
	v_ashrrev_i32_e32 v7, 31, v6
	v_lshl_add_u64 v[6:7], v[6:7], 2, s[36:37]
	.loc	1 127 12                        ; cross_entropy_aot.py:127:12
	global_load_dword v22, v[6:7], off
.LBB0_22:                               ;   in Loop: Header=BB0_4 Depth=1
	.loc	1 0 12                          ; cross_entropy_aot.py:0:12
	s_or_b64 exec, exec, s[6:7]
	.loc	1 125 24 is_stmt 1              ; cross_entropy_aot.py:125:24
	v_add_u32_e32 v6, 0x1200, v4
	.loc	1 128 29                        ; cross_entropy_aot.py:128:29
	v_cmp_gt_i32_e64 s[4:5], s17, v6
	.loc	1 127 12                        ; cross_entropy_aot.py:127:12
	s_and_saveexec_b64 s[6:7], s[4:5]
	s_cbranch_execz .LBB0_24
; %bb.23:                               ;   in Loop: Header=BB0_4 Depth=1
	.loc	1 127 20 is_stmt 0              ; cross_entropy_aot.py:127:20
	v_ashrrev_i32_e32 v7, 31, v6
	v_lshl_add_u64 v[6:7], v[6:7], 2, s[36:37]
	.loc	1 127 12                        ; cross_entropy_aot.py:127:12
	global_load_dword v21, v[6:7], off
.LBB0_24:                               ;   in Loop: Header=BB0_4 Depth=1
	.loc	1 0 12                          ; cross_entropy_aot.py:0:12
	s_or_b64 exec, exec, s[6:7]
	.loc	1 125 24 is_stmt 1              ; cross_entropy_aot.py:125:24
	v_add_u32_e32 v6, 0x1400, v4
	.loc	1 127 12                        ; cross_entropy_aot.py:127:12
	v_mov_b32_e32 v23, 0xff800000
	.loc	1 128 29                        ; cross_entropy_aot.py:128:29
	v_cmp_gt_i32_e64 s[4:5], s17, v6
	v_mov_b32_e32 v24, v23
	.loc	1 127 12                        ; cross_entropy_aot.py:127:12
	s_and_saveexec_b64 s[6:7], s[4:5]
	s_cbranch_execz .LBB0_26
; %bb.25:                               ;   in Loop: Header=BB0_4 Depth=1
	.loc	1 127 20 is_stmt 0              ; cross_entropy_aot.py:127:20
	v_ashrrev_i32_e32 v7, 31, v6
	v_lshl_add_u64 v[6:7], v[6:7], 2, s[36:37]
	.loc	1 127 12                        ; cross_entropy_aot.py:127:12
	global_load_dword v24, v[6:7], off
.LBB0_26:                               ;   in Loop: Header=BB0_4 Depth=1
	.loc	1 0 12                          ; cross_entropy_aot.py:0:12
	s_or_b64 exec, exec, s[6:7]
	.loc	1 125 24 is_stmt 1              ; cross_entropy_aot.py:125:24
	v_add_u32_e32 v6, 0x1600, v4
	.loc	1 128 29                        ; cross_entropy_aot.py:128:29
	v_cmp_gt_i32_e64 s[4:5], s17, v6
	.loc	1 127 12                        ; cross_entropy_aot.py:127:12
	s_and_saveexec_b64 s[6:7], s[4:5]
	s_cbranch_execz .LBB0_28
; %bb.27:                               ;   in Loop: Header=BB0_4 Depth=1
	.loc	1 127 20 is_stmt 0              ; cross_entropy_aot.py:127:20
	v_ashrrev_i32_e32 v7, 31, v6
	v_lshl_add_u64 v[6:7], v[6:7], 2, s[36:37]
	.loc	1 127 12                        ; cross_entropy_aot.py:127:12
	global_load_dword v23, v[6:7], off
.LBB0_28:                               ;   in Loop: Header=BB0_4 Depth=1
	.loc	1 0 12                          ; cross_entropy_aot.py:0:12
	s_or_b64 exec, exec, s[6:7]
	.loc	1 125 24 is_stmt 1              ; cross_entropy_aot.py:125:24
	v_add_u32_e32 v6, 0x1800, v4
	.loc	1 127 12                        ; cross_entropy_aot.py:127:12
	v_mov_b32_e32 v25, 0xff800000
	.loc	1 128 29                        ; cross_entropy_aot.py:128:29
	v_cmp_gt_i32_e64 s[4:5], s17, v6
	v_mov_b32_e32 v26, v25
	.loc	1 127 12                        ; cross_entropy_aot.py:127:12
	s_and_saveexec_b64 s[6:7], s[4:5]
	s_cbranch_execz .LBB0_30
; %bb.29:                               ;   in Loop: Header=BB0_4 Depth=1
	.loc	1 127 20 is_stmt 0              ; cross_entropy_aot.py:127:20
	v_ashrrev_i32_e32 v7, 31, v6
	v_lshl_add_u64 v[6:7], v[6:7], 2, s[36:37]
	.loc	1 127 12                        ; cross_entropy_aot.py:127:12
	global_load_dword v26, v[6:7], off
.LBB0_30:                               ;   in Loop: Header=BB0_4 Depth=1
	.loc	1 0 12                          ; cross_entropy_aot.py:0:12
	s_or_b64 exec, exec, s[6:7]
	.loc	1 125 24 is_stmt 1              ; cross_entropy_aot.py:125:24
	v_add_u32_e32 v6, 0x1a00, v4
	.loc	1 128 29                        ; cross_entropy_aot.py:128:29
	v_cmp_gt_i32_e64 s[4:5], s17, v6
	.loc	1 127 12                        ; cross_entropy_aot.py:127:12
	s_and_saveexec_b64 s[6:7], s[4:5]
	s_cbranch_execz .LBB0_32
; %bb.31:                               ;   in Loop: Header=BB0_4 Depth=1
	.loc	1 127 20 is_stmt 0              ; cross_entropy_aot.py:127:20
	v_ashrrev_i32_e32 v7, 31, v6
	v_lshl_add_u64 v[6:7], v[6:7], 2, s[36:37]
	.loc	1 127 12                        ; cross_entropy_aot.py:127:12
	global_load_dword v25, v[6:7], off
.LBB0_32:                               ;   in Loop: Header=BB0_4 Depth=1
	.loc	1 0 12                          ; cross_entropy_aot.py:0:12
	s_or_b64 exec, exec, s[6:7]
	.loc	1 125 24 is_stmt 1              ; cross_entropy_aot.py:125:24
	v_add_u32_e32 v6, 0x1c00, v4
	.loc	1 127 12                        ; cross_entropy_aot.py:127:12
	v_mov_b32_e32 v5, 0xff800000
	.loc	1 128 29                        ; cross_entropy_aot.py:128:29
	v_cmp_gt_i32_e64 s[4:5], s17, v6
	v_mov_b32_e32 v7, v5
	.loc	1 127 12                        ; cross_entropy_aot.py:127:12
	s_and_saveexec_b64 s[6:7], s[4:5]
	s_cbranch_execz .LBB0_34
; %bb.33:                               ;   in Loop: Header=BB0_4 Depth=1
	.loc	1 127 20 is_stmt 0              ; cross_entropy_aot.py:127:20
	v_ashrrev_i32_e32 v7, 31, v6
	v_lshl_add_u64 v[6:7], v[6:7], 2, s[36:37]
	.loc	1 127 12                        ; cross_entropy_aot.py:127:12
	global_load_dword v7, v[6:7], off
.LBB0_34:                               ;   in Loop: Header=BB0_4 Depth=1
	.loc	1 0 12                          ; cross_entropy_aot.py:0:12
	s_or_b64 exec, exec, s[6:7]
	.loc	1 128 29 is_stmt 1              ; cross_entropy_aot.py:128:29
	v_add_u32_e32 v4, 0x1e00, v4
	v_cmp_gt_i32_e64 s[4:5], s17, v4
	.loc	1 127 12                        ; cross_entropy_aot.py:127:12
	s_and_saveexec_b64 s[6:7], s[4:5]
	s_cbranch_execz .LBB0_36
; %bb.35:                               ;   in Loop: Header=BB0_4 Depth=1
	.loc	1 127 20 is_stmt 0              ; cross_entropy_aot.py:127:20
	v_ashrrev_i32_e32 v5, 31, v4
	v_lshl_add_u64 v[4:5], v[4:5], 2, s[36:37]
	.loc	1 127 12                        ; cross_entropy_aot.py:127:12
	global_load_dword v5, v[4:5], off
.LBB0_36:                               ;   in Loop: Header=BB0_4 Depth=1
	.loc	1 0 12                          ; cross_entropy_aot.py:0:12
	s_or_b64 exec, exec, s[6:7]
.Ltmp6:
	.loc	2 170 27 is_stmt 1              ; standard.py:170:27 @[ standard.py:191:40 @[ cross_entropy_aot.py:134:27 ] ]
	s_waitcnt vmcnt(0)
	v_max_f32_e32 v4, v13, v13
	v_max_f32_e32 v6, v14, v14
	v_max_f32_e32 v4, v6, v4
	v_max3_f32 v4, v4, v16, v15
	v_max3_f32 v4, v4, v18, v17
	;; [unrolled: 1-line block ×7, first 2 shown]
.Ltmp7:
	.loc	2 191 40                        ; standard.py:191:40 @[ cross_entropy_aot.py:134:27 ]
	s_waitcnt lgkmcnt(0)
	s_barrier
	v_mov_b32_dpp v6, v4 row_shr:8 row_mask:0xf bank_mask:0xf bound_ctrl:1
.Ltmp8:
	.loc	2 170 27                        ; standard.py:170:27 @[ standard.py:191:40 @[ cross_entropy_aot.py:134:27 ] ]
	v_max_f32_e32 v6, v6, v6
	v_max_f32_e32 v4, v4, v6
.Ltmp9:
	.loc	2 191 40                        ; standard.py:191:40 @[ cross_entropy_aot.py:134:27 ]
	s_nop 1
	v_mov_b32_dpp v6, v4 row_shr:4 row_mask:0xf bank_mask:0xf bound_ctrl:1
.Ltmp10:
	.loc	2 170 27                        ; standard.py:170:27 @[ standard.py:191:40 @[ cross_entropy_aot.py:134:27 ] ]
	v_max_f32_e32 v6, v6, v6
	v_max_f32_e32 v4, v4, v6
.Ltmp11:
	.loc	2 191 40                        ; standard.py:191:40 @[ cross_entropy_aot.py:134:27 ]
	s_nop 1
	v_mov_b32_dpp v6, v4 row_shr:2 row_mask:0xf bank_mask:0xf bound_ctrl:1
.Ltmp12:
	.loc	2 170 27                        ; standard.py:170:27 @[ standard.py:191:40 @[ cross_entropy_aot.py:134:27 ] ]
	v_max_f32_e32 v6, v6, v6
	v_max_f32_e32 v4, v4, v6
.Ltmp13:
	.loc	2 191 40                        ; standard.py:191:40 @[ cross_entropy_aot.py:134:27 ]
	s_nop 1
	v_mov_b32_dpp v6, v4 row_shr:1 row_mask:0xf bank_mask:0xf bound_ctrl:1
.Ltmp14:
	.loc	2 170 27                        ; standard.py:170:27 @[ standard.py:191:40 @[ cross_entropy_aot.py:134:27 ] ]
	v_max_f32_e32 v6, v6, v6
	v_max_f32_e32 v4, v4, v6
.Ltmp15:
	.loc	2 191 40                        ; standard.py:191:40 @[ cross_entropy_aot.py:134:27 ]
	v_mov_b32_e32 v6, v4
	s_nop 1
	v_mov_b32_dpp v6, v6 row_bcast:15 row_mask:0xa bank_mask:0xf bound_ctrl:1
.Ltmp16:
	.loc	2 170 27                        ; standard.py:170:27 @[ standard.py:191:40 @[ cross_entropy_aot.py:134:27 ] ]
	v_max_f32_e32 v6, v6, v6
	v_max_f32_e32 v4, v4, v6
.Ltmp17:
	.loc	2 191 40                        ; standard.py:191:40 @[ cross_entropy_aot.py:134:27 ]
	s_nop 1
	v_mov_b32_dpp v6, v4 row_bcast:31 row_mask:0xf bank_mask:0xf bound_ctrl:1
.Ltmp18:
	.loc	2 170 27                        ; standard.py:170:27 @[ standard.py:191:40 @[ cross_entropy_aot.py:134:27 ] ]
	v_max_f32_e32 v6, v6, v6
	v_max_f32_e32 v4, v4, v6
.Ltmp19:
	.loc	2 191 40                        ; standard.py:191:40 @[ cross_entropy_aot.py:134:27 ]
	s_nop 0
	v_readlane_b32 s6, v4, 63
	s_and_saveexec_b64 s[4:5], vcc
; %bb.37:                               ;   in Loop: Header=BB0_4 Depth=1
	v_mov_b32_e32 v4, s18
	v_mov_b32_e32 v6, s6
	ds_write_b32 v4, v6
.Ltmp20:
; %bb.38:                               ;   in Loop: Header=BB0_4 Depth=1
	.loc	2 0 40 is_stmt 0                ; standard.py:0:40
	s_or_b64 exec, exec, s[4:5]
	.loc	1 134 27 is_stmt 1              ; cross_entropy_aot.py:134:27
	v_mov_b32_e32 v4, 0
.Ltmp21:
	.loc	2 191 40                        ; standard.py:191:40 @[ cross_entropy_aot.py:134:27 ]
	s_waitcnt lgkmcnt(0)
	s_barrier
	s_and_saveexec_b64 s[4:5], s[2:3]
; %bb.39:                               ;   in Loop: Header=BB0_4 Depth=1
	ds_read_b32 v4, v8
; %bb.40:                               ;   in Loop: Header=BB0_4 Depth=1
	.loc	2 0 40 is_stmt 0                ; standard.py:0:40
	s_or_b64 exec, exec, s[4:5]
	.loc	2 191 40                        ; standard.py:191:40 @[ cross_entropy_aot.py:134:27 ]
	s_waitcnt lgkmcnt(0)
	v_mov_b32_e32 v6, v4
	s_nop 1
	v_mov_b32_dpp v6, v6 row_shr:4 row_mask:0xf bank_mask:0xa
	s_nop 1
	v_mov_b32_dpp v6, v4 row_shl:4 row_mask:0xf bank_mask:0x5
.Ltmp22:
	.loc	2 170 27 is_stmt 1              ; standard.py:170:27 @[ standard.py:191:40 @[ cross_entropy_aot.py:134:27 ] ]
	v_max_f32_e32 v6, v6, v6
	v_max_f32_e32 v4, v4, v4
	;; [unrolled: 1-line block ×3, first 2 shown]
.Ltmp23:
	.loc	2 191 40                        ; standard.py:191:40 @[ cross_entropy_aot.py:134:27 ]
	v_mov_b32_e32 v6, v4
	s_nop 1
	v_mov_b32_dpp v6, v6 quad_perm:[2,3,0,1] row_mask:0xf bank_mask:0xf
.Ltmp24:
	.loc	2 170 27                        ; standard.py:170:27 @[ standard.py:191:40 @[ cross_entropy_aot.py:134:27 ] ]
	v_max_f32_e32 v6, v6, v6
	v_max_f32_e32 v4, v4, v6
.Ltmp25:
	.loc	2 191 40                        ; standard.py:191:40 @[ cross_entropy_aot.py:134:27 ]
	v_mov_b32_e32 v6, v4
	s_nop 1
	v_mov_b32_dpp v6, v6 quad_perm:[1,0,3,2] row_mask:0xf bank_mask:0xf
	s_and_saveexec_b64 s[4:5], s[14:15]
; %bb.41:                               ;   in Loop: Header=BB0_4 Depth=1
	.loc	2 0 40 is_stmt 0                ; standard.py:0:40
	v_max_f32_e32 v6, v6, v6
	v_max_f32_e32 v4, v4, v4
	;; [unrolled: 1-line block ×3, first 2 shown]
	.loc	2 191 40                        ; standard.py:191:40 @[ cross_entropy_aot.py:134:27 ]
	ds_write_b32 v8, v4
; %bb.42:                               ;   in Loop: Header=BB0_4 Depth=1
	.loc	2 0 40                          ; standard.py:0:40
	s_or_b64 exec, exec, s[4:5]
	.loc	2 191 40                        ; standard.py:191:40 @[ cross_entropy_aot.py:134:27 ]
	s_waitcnt lgkmcnt(0)
	s_barrier
	ds_read_b32 v4, v3
.Ltmp26:
	.loc	1 155 30 is_stmt 1              ; cross_entropy_aot.py:155:30
	v_max_f32_e32 v6, v12, v12
.Ltmp27:
	.loc	2 293 36                        ; standard.py:293:36 @[ cross_entropy_aot.py:156:43 ]
	s_waitcnt lgkmcnt(0)
	s_barrier
.Ltmp28:
	.loc	1 155 30                        ; cross_entropy_aot.py:155:30
	v_max_f32_e32 v4, v4, v4
	v_max_f32_e32 v69, v6, v4
	.loc	1 156 60                        ; cross_entropy_aot.py:156:60
	v_sub_f32_e32 v4, v14, v69
	v_sub_f32_e32 v6, v13, v69
	;; [unrolled: 1-line block ×8, first 2 shown]
	.loc	1 156 50 is_stmt 0              ; cross_entropy_aot.py:156:50
	v_mul_f32_e32 v25, 0x3fb8aa3b, v4
	v_cmp_gt_f32_e64 s[4:5], s19, v25
	.loc	1 156 60                        ; cross_entropy_aot.py:156:60
	v_sub_f32_e32 v14, v15, v69
	v_sub_f32_e32 v15, v18, v69
	.loc	1 156 50                        ; cross_entropy_aot.py:156:50
	v_cndmask_b32_e64 v25, 0, v9, s[4:5]
	v_fmac_f32_e32 v25, 0x3fb8aa3b, v4
	v_exp_f32_e32 v4, v25
	v_mul_f32_e32 v25, 0x3fb8aa3b, v6
	v_cmp_gt_f32_e64 s[6:7], s19, v25
	.loc	1 156 60                        ; cross_entropy_aot.py:156:60
	v_sub_f32_e32 v18, v19, v69
	v_sub_f32_e32 v19, v22, v69
	.loc	1 156 50                        ; cross_entropy_aot.py:156:50
	v_cndmask_b32_e64 v25, 0, v9, s[6:7]
	v_fmac_f32_e32 v25, 0x3fb8aa3b, v6
	v_exp_f32_e32 v6, v25
	v_cndmask_b32_e64 v25, 0, v10, s[4:5]
	v_ldexp_f32 v4, v4, v25
	v_cndmask_b32_e64 v25, 0, v10, s[6:7]
	v_ldexp_f32 v6, v6, v25
	v_mul_f32_e32 v25, 0x3fb8aa3b, v13
	v_cmp_gt_f32_e64 s[4:5], s19, v25
	.loc	1 156 60                        ; cross_entropy_aot.py:156:60
	v_sub_f32_e32 v22, v23, v69
	v_sub_f32_e32 v23, v26, v69
	.loc	1 156 50                        ; cross_entropy_aot.py:156:50
	v_cndmask_b32_e64 v25, 0, v9, s[4:5]
	v_fmac_f32_e32 v25, 0x3fb8aa3b, v13
	v_exp_f32_e32 v13, v25
	v_mul_f32_e32 v25, 0x3fb8aa3b, v14
	v_cmp_gt_f32_e64 s[6:7], s19, v25
	.loc	1 156 60                        ; cross_entropy_aot.py:156:60
	v_sub_f32_e32 v7, v7, v69
.Ltmp29:
	.loc	2 263 15 is_stmt 1              ; standard.py:263:15 @[ standard.py:293:36 @[ cross_entropy_aot.py:156:43 ] ]
	v_add_f32_e32 v4, v4, v6
.Ltmp30:
	.loc	1 156 50                        ; cross_entropy_aot.py:156:50
	v_cndmask_b32_e64 v25, 0, v9, s[6:7]
	v_fmac_f32_e32 v25, 0x3fb8aa3b, v14
	v_exp_f32_e32 v14, v25
	v_cndmask_b32_e64 v25, 0, v10, s[4:5]
	v_ldexp_f32 v13, v13, v25
	v_cndmask_b32_e64 v25, 0, v10, s[6:7]
	v_ldexp_f32 v14, v14, v25
	v_mul_f32_e32 v25, 0x3fb8aa3b, v15
	v_cmp_gt_f32_e64 s[4:5], s19, v25
.Ltmp31:
	.loc	2 263 15                        ; standard.py:263:15 @[ standard.py:293:36 @[ cross_entropy_aot.py:156:43 ] ]
	v_add_f32_e32 v4, v13, v4
	v_add_f32_e32 v4, v14, v4
.Ltmp32:
	.loc	1 156 50                        ; cross_entropy_aot.py:156:50
	v_cndmask_b32_e64 v25, 0, v9, s[4:5]
	v_fmac_f32_e32 v25, 0x3fb8aa3b, v15
	v_exp_f32_e32 v15, v25
	v_mul_f32_e32 v25, 0x3fb8aa3b, v16
	v_cmp_gt_f32_e64 s[6:7], s19, v25
	.loc	1 156 60 is_stmt 0              ; cross_entropy_aot.py:156:60
	v_sub_f32_e32 v5, v5, v69
	.loc	1 156 50                        ; cross_entropy_aot.py:156:50
	s_nop 0
	v_cndmask_b32_e64 v25, 0, v9, s[6:7]
	v_fmac_f32_e32 v25, 0x3fb8aa3b, v16
	v_exp_f32_e32 v16, v25
	v_cndmask_b32_e64 v25, 0, v10, s[4:5]
	v_ldexp_f32 v15, v15, v25
	v_cndmask_b32_e64 v25, 0, v10, s[6:7]
	v_ldexp_f32 v16, v16, v25
	v_mul_f32_e32 v25, 0x3fb8aa3b, v17
	v_cmp_gt_f32_e64 s[4:5], s19, v25
.Ltmp33:
	.loc	2 263 15 is_stmt 1              ; standard.py:263:15 @[ standard.py:293:36 @[ cross_entropy_aot.py:156:43 ] ]
	v_add_f32_e32 v4, v15, v4
	v_add_f32_e32 v4, v16, v4
.Ltmp34:
	.loc	1 156 50                        ; cross_entropy_aot.py:156:50
	v_cndmask_b32_e64 v25, 0, v9, s[4:5]
	v_fmac_f32_e32 v25, 0x3fb8aa3b, v17
	v_exp_f32_e32 v17, v25
	v_mul_f32_e32 v25, 0x3fb8aa3b, v18
	v_cmp_gt_f32_e64 s[6:7], s19, v25
	s_nop 1
	v_cndmask_b32_e64 v25, 0, v9, s[6:7]
	v_fmac_f32_e32 v25, 0x3fb8aa3b, v18
	v_exp_f32_e32 v18, v25
	v_cndmask_b32_e64 v25, 0, v10, s[4:5]
	v_ldexp_f32 v17, v17, v25
	v_cndmask_b32_e64 v25, 0, v10, s[6:7]
	v_ldexp_f32 v18, v18, v25
	v_mul_f32_e32 v25, 0x3fb8aa3b, v19
	v_cmp_gt_f32_e64 s[4:5], s19, v25
.Ltmp35:
	.loc	2 263 15                        ; standard.py:263:15 @[ standard.py:293:36 @[ cross_entropy_aot.py:156:43 ] ]
	v_add_f32_e32 v4, v17, v4
	v_add_f32_e32 v4, v18, v4
.Ltmp36:
	.loc	1 156 50                        ; cross_entropy_aot.py:156:50
	v_cndmask_b32_e64 v25, 0, v9, s[4:5]
	v_fmac_f32_e32 v25, 0x3fb8aa3b, v19
	v_exp_f32_e32 v19, v25
	v_mul_f32_e32 v25, 0x3fb8aa3b, v20
	v_cmp_gt_f32_e64 s[6:7], s19, v25
	s_nop 1
	v_cndmask_b32_e64 v25, 0, v9, s[6:7]
	v_fmac_f32_e32 v25, 0x3fb8aa3b, v20
	v_exp_f32_e32 v20, v25
	v_cndmask_b32_e64 v25, 0, v10, s[4:5]
	v_ldexp_f32 v19, v19, v25
	v_cndmask_b32_e64 v25, 0, v10, s[6:7]
	v_ldexp_f32 v20, v20, v25
	v_mul_f32_e32 v25, 0x3fb8aa3b, v21
	v_cmp_gt_f32_e64 s[4:5], s19, v25
.Ltmp37:
	.loc	2 263 15                        ; standard.py:263:15 @[ standard.py:293:36 @[ cross_entropy_aot.py:156:43 ] ]
	v_add_f32_e32 v4, v19, v4
	v_add_f32_e32 v4, v20, v4
.Ltmp38:
	.loc	1 156 50                        ; cross_entropy_aot.py:156:50
	v_cndmask_b32_e64 v25, 0, v9, s[4:5]
	v_fmac_f32_e32 v25, 0x3fb8aa3b, v21
	v_exp_f32_e32 v21, v25
	v_mul_f32_e32 v25, 0x3fb8aa3b, v22
	v_cmp_gt_f32_e64 s[6:7], s19, v25
	s_nop 1
	v_cndmask_b32_e64 v25, 0, v9, s[6:7]
	v_fmac_f32_e32 v25, 0x3fb8aa3b, v22
	v_exp_f32_e32 v22, v25
	v_cndmask_b32_e64 v25, 0, v10, s[4:5]
	v_ldexp_f32 v21, v21, v25
	v_cndmask_b32_e64 v25, 0, v10, s[6:7]
	v_ldexp_f32 v22, v22, v25
	v_mul_f32_e32 v25, 0x3fb8aa3b, v23
	v_cmp_gt_f32_e64 s[4:5], s19, v25
.Ltmp39:
	.loc	2 263 15                        ; standard.py:263:15 @[ standard.py:293:36 @[ cross_entropy_aot.py:156:43 ] ]
	v_add_f32_e32 v4, v21, v4
	v_add_f32_e32 v4, v22, v4
.Ltmp40:
	.loc	1 156 50                        ; cross_entropy_aot.py:156:50
	v_cndmask_b32_e64 v25, 0, v9, s[4:5]
	v_fmac_f32_e32 v25, 0x3fb8aa3b, v23
	v_exp_f32_e32 v23, v25
	v_mul_f32_e32 v25, 0x3fb8aa3b, v24
	v_cmp_gt_f32_e64 s[6:7], s19, v25
	s_nop 1
	v_cndmask_b32_e64 v25, 0, v9, s[6:7]
	v_fmac_f32_e32 v25, 0x3fb8aa3b, v24
	v_exp_f32_e32 v24, v25
	v_cndmask_b32_e64 v25, 0, v10, s[4:5]
	v_ldexp_f32 v23, v23, v25
	v_cndmask_b32_e64 v25, 0, v10, s[6:7]
	v_ldexp_f32 v24, v24, v25
	v_mul_f32_e32 v25, 0x3fb8aa3b, v7
	v_cmp_gt_f32_e64 s[4:5], s19, v25
.Ltmp41:
	.loc	2 263 15                        ; standard.py:263:15 @[ standard.py:293:36 @[ cross_entropy_aot.py:156:43 ] ]
	v_add_f32_e32 v4, v23, v4
	v_add_f32_e32 v4, v24, v4
.Ltmp42:
	.loc	1 156 50                        ; cross_entropy_aot.py:156:50
	v_cndmask_b32_e64 v25, 0, v9, s[4:5]
	v_fmac_f32_e32 v25, 0x3fb8aa3b, v7
	v_exp_f32_e32 v7, v25
	v_mul_f32_e32 v25, 0x3fb8aa3b, v5
	v_cmp_gt_f32_e64 s[6:7], s19, v25
	s_nop 1
	v_cndmask_b32_e64 v25, 0, v9, s[6:7]
	v_fmac_f32_e32 v25, 0x3fb8aa3b, v5
	v_exp_f32_e32 v5, v25
	v_cndmask_b32_e64 v25, 0, v10, s[4:5]
	v_ldexp_f32 v7, v7, v25
	v_cndmask_b32_e64 v25, 0, v10, s[6:7]
	v_ldexp_f32 v5, v5, v25
.Ltmp43:
	.loc	2 263 15                        ; standard.py:263:15 @[ standard.py:293:36 @[ cross_entropy_aot.py:156:43 ] ]
	v_add_f32_e32 v4, v7, v4
	v_add_f32_e32 v4, v5, v4
	s_nop 1
	v_add_f32_dpp v4, v4, v4 row_shr:8 row_mask:0xf bank_mask:0xf bound_ctrl:1
	s_nop 1
	v_add_f32_dpp v4, v4, v4 row_shr:4 row_mask:0xf bank_mask:0xf bound_ctrl:1
	;; [unrolled: 2-line block ×4, first 2 shown]
.Ltmp44:
	.loc	2 293 36                        ; standard.py:293:36 @[ cross_entropy_aot.py:156:43 ]
	v_mov_b32_e32 v5, v4
	s_nop 1
	v_mov_b32_dpp v5, v5 row_bcast:15 row_mask:0xa bank_mask:0xf bound_ctrl:1
.Ltmp45:
	.loc	2 263 15                        ; standard.py:263:15 @[ standard.py:293:36 @[ cross_entropy_aot.py:156:43 ] ]
	v_add_f32_e32 v4, v5, v4
	s_nop 1
	v_add_f32_dpp v4, v4, v4 row_bcast:31 row_mask:0xf bank_mask:0xf bound_ctrl:1
.Ltmp46:
	.loc	2 293 36                        ; standard.py:293:36 @[ cross_entropy_aot.py:156:43 ]
	s_nop 0
	v_readlane_b32 s6, v4, 63
	s_and_saveexec_b64 s[4:5], vcc
; %bb.43:                               ;   in Loop: Header=BB0_4 Depth=1
	v_mov_b32_e32 v4, s18
	v_mov_b32_e32 v5, s6
	ds_write_b32 v4, v5
.Ltmp47:
; %bb.44:                               ;   in Loop: Header=BB0_4 Depth=1
	.loc	2 0 36 is_stmt 0                ; standard.py:0:36
	s_or_b64 exec, exec, s[4:5]
	.loc	1 156 43 is_stmt 1              ; cross_entropy_aot.py:156:43
	v_mov_b32_e32 v4, 0
.Ltmp48:
	.loc	2 293 36                        ; standard.py:293:36 @[ cross_entropy_aot.py:156:43 ]
	s_waitcnt lgkmcnt(0)
	s_barrier
	s_and_saveexec_b64 s[4:5], s[2:3]
; %bb.45:                               ;   in Loop: Header=BB0_4 Depth=1
	ds_read_b32 v4, v8
; %bb.46:                               ;   in Loop: Header=BB0_4 Depth=1
	.loc	2 0 36 is_stmt 0                ; standard.py:0:36
	s_or_b64 exec, exec, s[4:5]
	.loc	2 293 36                        ; standard.py:293:36 @[ cross_entropy_aot.py:156:43 ]
	s_waitcnt lgkmcnt(0)
	v_mov_b32_e32 v5, v4
	s_nop 1
	v_mov_b32_dpp v5, v5 row_shr:4 row_mask:0xf bank_mask:0xa
	s_nop 1
	v_mov_b32_dpp v5, v4 row_shl:4 row_mask:0xf bank_mask:0x5
.Ltmp49:
	.loc	2 263 15 is_stmt 1              ; standard.py:263:15 @[ standard.py:293:36 @[ cross_entropy_aot.py:156:43 ] ]
	v_add_f32_e32 v4, v4, v5
.Ltmp50:
	.loc	2 293 36                        ; standard.py:293:36 @[ cross_entropy_aot.py:156:43 ]
	v_mov_b32_e32 v5, v4
	s_nop 1
	v_mov_b32_dpp v5, v5 quad_perm:[2,3,0,1] row_mask:0xf bank_mask:0xf
.Ltmp51:
	.loc	2 263 15                        ; standard.py:263:15 @[ standard.py:293:36 @[ cross_entropy_aot.py:156:43 ] ]
	v_add_f32_e32 v4, v4, v5
.Ltmp52:
	.loc	2 293 36                        ; standard.py:293:36 @[ cross_entropy_aot.py:156:43 ]
	v_mov_b32_e32 v5, v4
	s_nop 1
	v_mov_b32_dpp v5, v5 quad_perm:[1,0,3,2] row_mask:0xf bank_mask:0xf
	s_and_saveexec_b64 s[4:5], s[14:15]
	s_cbranch_execz .LBB0_3
; %bb.47:                               ;   in Loop: Header=BB0_4 Depth=1
	.loc	2 0 36 is_stmt 0                ; standard.py:0:36
	v_add_f32_e32 v4, v4, v5
	.loc	2 293 36                        ; standard.py:293:36 @[ cross_entropy_aot.py:156:43 ]
	ds_write_b32 v8, v4
	s_branch .LBB0_3
.Ltmp53:
.LBB0_48:
	.loc	2 0 36                          ; standard.py:0:36
	v_mov_b32_e32 v70, 0
	v_mov_b32_e32 v69, 0xff800000
.LBB0_49:                               ; %Flow9
	s_load_dword s45, s[0:1], 0x38
	s_load_dword s2, s[0:1], 0x60
	s_mov_b32 s0, 0x800000
	.loc	1 162 21 is_stmt 1              ; cross_entropy_aot.py:162:21
	v_cmp_gt_f32_e32 vcc, s0, v70
	s_and_b64 s[0:1], vcc, exec
	s_cselect_b32 s0, 32, 0
	v_ldexp_f32 v4, v70, s0
	v_log_f32_e32 v4, v4
	s_mov_b32 s0, 0x3f317217
	v_mov_b32_e32 v3, 0x41b17218
	v_cndmask_b32_e32 v3, 0, v3, vcc
	v_mul_f32_e32 v5, 0x3f317217, v4
	v_fma_f32 v5, v4, s0, -v5
	v_fmamk_f32 v5, v4, 0x3377d1cf, v5
	s_mov_b32 s0, 0x7f800000
	v_fmac_f32_e32 v5, 0x3f317217, v4
	v_cmp_lt_f32_e64 vcc, |v4|, s0
	.loc	1 202 40                        ; cross_entropy_aot.py:202:40
	s_waitcnt lgkmcnt(0)
	v_cvt_f32_i32_e32 v71, s2
	s_mov_b32 s40, 0
	.loc	1 162 21                        ; cross_entropy_aot.py:162:21
	v_cndmask_b32_e32 v4, v4, v5, vcc
	v_sub_f32_e32 v3, v4, v3
	.loc	1 162 14 is_stmt 0              ; cross_entropy_aot.py:162:14
	v_add_f32_e32 v72, v69, v3
	.loc	1 179 34 is_stmt 1              ; cross_entropy_aot.py:179:34
	s_andn2_b64 vcc, exec, s[8:9]
	.loc	1 195 50                        ; cross_entropy_aot.py:195:50
	v_mul_f32_e32 v73, 0, v72
	.loc	1 179 34                        ; cross_entropy_aot.py:179:34
	s_cbranch_vccnz .LBB0_116
; %bb.50:                               ; %.lr.ph23.preheader
	.loc	1 122 28                        ; cross_entropy_aot.py:122:28
	v_cvt_f32_i32_e32 v4, s17
	v_mov_b32_e32 v3, 0
	s_mov_b32 s46, 0xc2fc0000
	v_mov_b32_e32 v75, 0x42800000
	v_div_scale_f32 v5, s[0:1], v4, v4, 0
	v_rcp_f32_e32 v6, v5
	v_div_scale_f32 v7, vcc, 0, v4, 0
	v_not_b32_e32 v76, 63
	v_fma_f32 v8, -v5, v6, 1.0
	v_fmac_f32_e32 v6, v8, v6
	v_mul_f32_e32 v8, v7, v6
	v_fma_f32 v9, -v5, v8, v7
	v_fmac_f32_e32 v8, v9, v6
	v_fma_f32 v5, -v5, v8, v7
	v_div_fmas_f32 v5, v5, v6, v8
	v_div_fixup_f32 v4, v5, v4, 0
	.loc	1 197 28                        ; cross_entropy_aot.py:197:28
	v_sub_f32_e32 v74, 0, v4
	s_branch .LBB0_52
.LBB0_51:                               ;   in Loop: Header=BB0_52 Depth=1
	.loc	1 0 28 is_stmt 0                ; cross_entropy_aot.py:0:28
	s_or_b64 exec, exec, s[2:3]
	.loc	1 179 34 is_stmt 1              ; cross_entropy_aot.py:179:34
	s_addk_i32 s40, 0x2000
	s_cmp_lt_i32 s40, s17
	s_cbranch_scc0 .LBB0_116
.LBB0_52:                               ; %.lr.ph23
                                        ; =>This Inner Loop Header: Depth=1
	.loc	1 180 28                        ; cross_entropy_aot.py:180:28
	v_add_u32_e32 v66, s40, v68
	.loc	1 182 24                        ; cross_entropy_aot.py:182:24
	v_ashrrev_i32_e32 v67, 31, v66
	.loc	1 182 16 is_stmt 0              ; cross_entropy_aot.py:182:16
	s_waitcnt vmcnt(0)
	v_mov_b32_e32 v63, 0xff800000
	.loc	1 183 33 is_stmt 1              ; cross_entropy_aot.py:183:33
	v_cmp_gt_i32_e32 vcc, s17, v66
	.loc	1 182 24                        ; cross_entropy_aot.py:182:24
	v_lshl_add_u64 v[64:65], v[66:67], 2, s[36:37]
	v_mov_b32_e32 v91, v63
	.loc	1 182 16 is_stmt 0              ; cross_entropy_aot.py:182:16
	s_and_saveexec_b64 s[0:1], vcc
	s_cbranch_execz .LBB0_54
; %bb.53:                               ;   in Loop: Header=BB0_52 Depth=1
	global_load_dword v91, v[64:65], off
.LBB0_54:                               ;   in Loop: Header=BB0_52 Depth=1
	.loc	1 0 16                          ; cross_entropy_aot.py:0:16
	s_or_b64 exec, exec, s[0:1]
	.loc	1 182 24                        ; cross_entropy_aot.py:182:24
	s_ashr_i32 s41, s40, 31
	.loc	1 180 28 is_stmt 1              ; cross_entropy_aot.py:180:28
	v_add_u32_e32 v62, 0x200, v66
	v_lshl_add_u64 v[4:5], s[40:41], 0, v[2:3]
	.loc	1 183 33                        ; cross_entropy_aot.py:183:33
	v_cmp_gt_i32_e64 s[30:31], s17, v62
	.loc	1 182 24                        ; cross_entropy_aot.py:182:24
	v_lshl_add_u64 v[60:61], v[4:5], 2, s[36:37]
	.loc	1 182 16 is_stmt 0              ; cross_entropy_aot.py:182:16
	s_and_saveexec_b64 s[0:1], s[30:31]
	s_cbranch_execz .LBB0_56
; %bb.55:                               ;   in Loop: Header=BB0_52 Depth=1
	global_load_dword v63, v[60:61], off offset:2048
.LBB0_56:                               ;   in Loop: Header=BB0_52 Depth=1
	.loc	1 0 16                          ; cross_entropy_aot.py:0:16
	s_or_b64 exec, exec, s[0:1]
	.loc	1 180 28 is_stmt 1              ; cross_entropy_aot.py:180:28
	v_add_u32_e32 v58, 0x400, v66
	.loc	1 182 24                        ; cross_entropy_aot.py:182:24
	v_ashrrev_i32_e32 v59, 31, v58
	.loc	1 182 16 is_stmt 0              ; cross_entropy_aot.py:182:16
	v_mov_b32_e32 v89, 0xff800000
	.loc	1 183 33 is_stmt 1              ; cross_entropy_aot.py:183:33
	v_cmp_gt_i32_e64 s[28:29], s17, v58
	.loc	1 182 24                        ; cross_entropy_aot.py:182:24
	v_lshl_add_u64 v[56:57], v[58:59], 2, s[36:37]
	v_mov_b32_e32 v90, v89
	.loc	1 182 16 is_stmt 0              ; cross_entropy_aot.py:182:16
	s_and_saveexec_b64 s[0:1], s[28:29]
	s_cbranch_execz .LBB0_58
; %bb.57:                               ;   in Loop: Header=BB0_52 Depth=1
	global_load_dword v90, v[56:57], off
.LBB0_58:                               ;   in Loop: Header=BB0_52 Depth=1
	.loc	1 0 16                          ; cross_entropy_aot.py:0:16
	s_or_b64 exec, exec, s[0:1]
	.loc	1 180 28 is_stmt 1              ; cross_entropy_aot.py:180:28
	v_add_u32_e32 v54, 0x600, v66
	.loc	1 182 24                        ; cross_entropy_aot.py:182:24
	v_ashrrev_i32_e32 v55, 31, v54
	.loc	1 183 33                        ; cross_entropy_aot.py:183:33
	v_cmp_gt_i32_e64 s[26:27], s17, v54
	.loc	1 182 24                        ; cross_entropy_aot.py:182:24
	v_lshl_add_u64 v[52:53], v[54:55], 2, s[36:37]
	.loc	1 182 16 is_stmt 0              ; cross_entropy_aot.py:182:16
	s_and_saveexec_b64 s[0:1], s[26:27]
	s_cbranch_execz .LBB0_60
; %bb.59:                               ;   in Loop: Header=BB0_52 Depth=1
	global_load_dword v89, v[52:53], off
.LBB0_60:                               ;   in Loop: Header=BB0_52 Depth=1
	.loc	1 0 16                          ; cross_entropy_aot.py:0:16
	s_or_b64 exec, exec, s[0:1]
	.loc	1 180 28 is_stmt 1              ; cross_entropy_aot.py:180:28
	v_add_u32_e32 v50, 0x800, v66
	.loc	1 182 24                        ; cross_entropy_aot.py:182:24
	v_ashrrev_i32_e32 v51, 31, v50
	.loc	1 182 16 is_stmt 0              ; cross_entropy_aot.py:182:16
	v_mov_b32_e32 v87, 0xff800000
	.loc	1 183 33 is_stmt 1              ; cross_entropy_aot.py:183:33
	v_cmp_gt_i32_e64 s[24:25], s17, v50
	.loc	1 182 24                        ; cross_entropy_aot.py:182:24
	v_lshl_add_u64 v[48:49], v[50:51], 2, s[36:37]
	v_mov_b32_e32 v88, v87
	.loc	1 182 16 is_stmt 0              ; cross_entropy_aot.py:182:16
	s_and_saveexec_b64 s[0:1], s[24:25]
	s_cbranch_execz .LBB0_62
; %bb.61:                               ;   in Loop: Header=BB0_52 Depth=1
	global_load_dword v88, v[48:49], off
.LBB0_62:                               ;   in Loop: Header=BB0_52 Depth=1
	.loc	1 0 16                          ; cross_entropy_aot.py:0:16
	s_or_b64 exec, exec, s[0:1]
	.loc	1 180 28 is_stmt 1              ; cross_entropy_aot.py:180:28
	v_add_u32_e32 v46, 0xa00, v66
	.loc	1 182 24                        ; cross_entropy_aot.py:182:24
	v_ashrrev_i32_e32 v47, 31, v46
	.loc	1 183 33                        ; cross_entropy_aot.py:183:33
	v_cmp_gt_i32_e64 s[22:23], s17, v46
	.loc	1 182 24                        ; cross_entropy_aot.py:182:24
	v_lshl_add_u64 v[44:45], v[46:47], 2, s[36:37]
	.loc	1 182 16 is_stmt 0              ; cross_entropy_aot.py:182:16
	s_and_saveexec_b64 s[0:1], s[22:23]
	s_cbranch_execz .LBB0_64
; %bb.63:                               ;   in Loop: Header=BB0_52 Depth=1
	global_load_dword v87, v[44:45], off
.LBB0_64:                               ;   in Loop: Header=BB0_52 Depth=1
	.loc	1 0 16                          ; cross_entropy_aot.py:0:16
	s_or_b64 exec, exec, s[0:1]
	.loc	1 180 28 is_stmt 1              ; cross_entropy_aot.py:180:28
	v_add_u32_e32 v42, 0xc00, v66
	.loc	1 182 24                        ; cross_entropy_aot.py:182:24
	v_ashrrev_i32_e32 v43, 31, v42
	.loc	1 182 16 is_stmt 0              ; cross_entropy_aot.py:182:16
	v_mov_b32_e32 v85, 0xff800000
	.loc	1 183 33 is_stmt 1              ; cross_entropy_aot.py:183:33
	v_cmp_gt_i32_e64 s[20:21], s17, v42
	.loc	1 182 24                        ; cross_entropy_aot.py:182:24
	v_lshl_add_u64 v[40:41], v[42:43], 2, s[36:37]
	v_mov_b32_e32 v86, v85
	.loc	1 182 16 is_stmt 0              ; cross_entropy_aot.py:182:16
	s_and_saveexec_b64 s[0:1], s[20:21]
	s_cbranch_execz .LBB0_66
; %bb.65:                               ;   in Loop: Header=BB0_52 Depth=1
	global_load_dword v86, v[40:41], off
.LBB0_66:                               ;   in Loop: Header=BB0_52 Depth=1
	.loc	1 0 16                          ; cross_entropy_aot.py:0:16
	s_or_b64 exec, exec, s[0:1]
	.loc	1 180 28 is_stmt 1              ; cross_entropy_aot.py:180:28
	v_add_u32_e32 v38, 0xe00, v66
	.loc	1 182 24                        ; cross_entropy_aot.py:182:24
	v_ashrrev_i32_e32 v39, 31, v38
	.loc	1 183 33                        ; cross_entropy_aot.py:183:33
	v_cmp_gt_i32_e64 s[18:19], s17, v38
	.loc	1 182 24                        ; cross_entropy_aot.py:182:24
	v_lshl_add_u64 v[36:37], v[38:39], 2, s[36:37]
	.loc	1 182 16 is_stmt 0              ; cross_entropy_aot.py:182:16
	s_and_saveexec_b64 s[0:1], s[18:19]
	s_cbranch_execz .LBB0_68
; %bb.67:                               ;   in Loop: Header=BB0_52 Depth=1
	global_load_dword v85, v[36:37], off
.LBB0_68:                               ;   in Loop: Header=BB0_52 Depth=1
	.loc	1 0 16                          ; cross_entropy_aot.py:0:16
	s_or_b64 exec, exec, s[0:1]
	.loc	1 180 28 is_stmt 1              ; cross_entropy_aot.py:180:28
	v_add_u32_e32 v34, 0x1000, v66
	.loc	1 182 24                        ; cross_entropy_aot.py:182:24
	v_ashrrev_i32_e32 v35, 31, v34
	.loc	1 182 16 is_stmt 0              ; cross_entropy_aot.py:182:16
	v_mov_b32_e32 v83, 0xff800000
	.loc	1 183 33 is_stmt 1              ; cross_entropy_aot.py:183:33
	v_cmp_gt_i32_e64 s[34:35], s17, v34
	.loc	1 182 24                        ; cross_entropy_aot.py:182:24
	v_lshl_add_u64 v[32:33], v[34:35], 2, s[36:37]
	v_mov_b32_e32 v84, v83
	.loc	1 182 16 is_stmt 0              ; cross_entropy_aot.py:182:16
	s_and_saveexec_b64 s[0:1], s[34:35]
	s_cbranch_execz .LBB0_70
; %bb.69:                               ;   in Loop: Header=BB0_52 Depth=1
	global_load_dword v84, v[32:33], off
.LBB0_70:                               ;   in Loop: Header=BB0_52 Depth=1
	.loc	1 0 16                          ; cross_entropy_aot.py:0:16
	s_or_b64 exec, exec, s[0:1]
	.loc	1 180 28 is_stmt 1              ; cross_entropy_aot.py:180:28
	v_add_u32_e32 v30, 0x1200, v66
	.loc	1 182 24                        ; cross_entropy_aot.py:182:24
	v_ashrrev_i32_e32 v31, 31, v30
	.loc	1 183 33                        ; cross_entropy_aot.py:183:33
	v_cmp_gt_i32_e64 s[14:15], s17, v30
	.loc	1 182 24                        ; cross_entropy_aot.py:182:24
	v_lshl_add_u64 v[28:29], v[30:31], 2, s[36:37]
	.loc	1 182 16 is_stmt 0              ; cross_entropy_aot.py:182:16
	s_and_saveexec_b64 s[0:1], s[14:15]
	s_cbranch_execz .LBB0_72
; %bb.71:                               ;   in Loop: Header=BB0_52 Depth=1
	global_load_dword v83, v[28:29], off
.LBB0_72:                               ;   in Loop: Header=BB0_52 Depth=1
	.loc	1 0 16                          ; cross_entropy_aot.py:0:16
	s_or_b64 exec, exec, s[0:1]
	.loc	1 180 28 is_stmt 1              ; cross_entropy_aot.py:180:28
	v_add_u32_e32 v26, 0x1400, v66
	.loc	1 182 24                        ; cross_entropy_aot.py:182:24
	v_ashrrev_i32_e32 v27, 31, v26
	.loc	1 182 16 is_stmt 0              ; cross_entropy_aot.py:182:16
	v_mov_b32_e32 v81, 0xff800000
	.loc	1 183 33 is_stmt 1              ; cross_entropy_aot.py:183:33
	v_cmp_gt_i32_e64 s[10:11], s17, v26
	.loc	1 182 24                        ; cross_entropy_aot.py:182:24
	v_lshl_add_u64 v[24:25], v[26:27], 2, s[36:37]
	v_mov_b32_e32 v82, v81
	.loc	1 182 16 is_stmt 0              ; cross_entropy_aot.py:182:16
	s_and_saveexec_b64 s[0:1], s[10:11]
	s_cbranch_execz .LBB0_74
; %bb.73:                               ;   in Loop: Header=BB0_52 Depth=1
	global_load_dword v82, v[24:25], off
.LBB0_74:                               ;   in Loop: Header=BB0_52 Depth=1
	.loc	1 0 16                          ; cross_entropy_aot.py:0:16
	s_or_b64 exec, exec, s[0:1]
	.loc	1 180 28 is_stmt 1              ; cross_entropy_aot.py:180:28
	v_add_u32_e32 v22, 0x1600, v66
	.loc	1 182 24                        ; cross_entropy_aot.py:182:24
	v_ashrrev_i32_e32 v23, 31, v22
	.loc	1 183 33                        ; cross_entropy_aot.py:183:33
	v_cmp_gt_i32_e64 s[8:9], s17, v22
	.loc	1 182 24                        ; cross_entropy_aot.py:182:24
	v_lshl_add_u64 v[20:21], v[22:23], 2, s[36:37]
	.loc	1 182 16 is_stmt 0              ; cross_entropy_aot.py:182:16
	s_and_saveexec_b64 s[0:1], s[8:9]
	s_cbranch_execz .LBB0_76
; %bb.75:                               ;   in Loop: Header=BB0_52 Depth=1
	global_load_dword v81, v[20:21], off
.LBB0_76:                               ;   in Loop: Header=BB0_52 Depth=1
	.loc	1 0 16                          ; cross_entropy_aot.py:0:16
	s_or_b64 exec, exec, s[0:1]
	.loc	1 180 28 is_stmt 1              ; cross_entropy_aot.py:180:28
	v_add_u32_e32 v18, 0x1800, v66
	.loc	1 182 24                        ; cross_entropy_aot.py:182:24
	v_ashrrev_i32_e32 v19, 31, v18
	.loc	1 182 16 is_stmt 0              ; cross_entropy_aot.py:182:16
	v_mov_b32_e32 v79, 0xff800000
	.loc	1 183 33 is_stmt 1              ; cross_entropy_aot.py:183:33
	v_cmp_gt_i32_e64 s[6:7], s17, v18
	.loc	1 182 24                        ; cross_entropy_aot.py:182:24
	v_lshl_add_u64 v[16:17], v[18:19], 2, s[36:37]
	v_mov_b32_e32 v80, v79
	.loc	1 182 16 is_stmt 0              ; cross_entropy_aot.py:182:16
	s_and_saveexec_b64 s[0:1], s[6:7]
	s_cbranch_execz .LBB0_78
; %bb.77:                               ;   in Loop: Header=BB0_52 Depth=1
	global_load_dword v80, v[16:17], off
.LBB0_78:                               ;   in Loop: Header=BB0_52 Depth=1
	.loc	1 0 16                          ; cross_entropy_aot.py:0:16
	s_or_b64 exec, exec, s[0:1]
	.loc	1 180 28 is_stmt 1              ; cross_entropy_aot.py:180:28
	v_add_u32_e32 v14, 0x1a00, v66
	.loc	1 182 24                        ; cross_entropy_aot.py:182:24
	v_ashrrev_i32_e32 v15, 31, v14
	.loc	1 183 33                        ; cross_entropy_aot.py:183:33
	v_cmp_gt_i32_e64 s[4:5], s17, v14
	.loc	1 182 24                        ; cross_entropy_aot.py:182:24
	v_lshl_add_u64 v[12:13], v[14:15], 2, s[36:37]
	.loc	1 182 16 is_stmt 0              ; cross_entropy_aot.py:182:16
	s_and_saveexec_b64 s[0:1], s[4:5]
	s_cbranch_execz .LBB0_80
; %bb.79:                               ;   in Loop: Header=BB0_52 Depth=1
	global_load_dword v79, v[12:13], off
.LBB0_80:                               ;   in Loop: Header=BB0_52 Depth=1
	.loc	1 0 16                          ; cross_entropy_aot.py:0:16
	s_or_b64 exec, exec, s[0:1]
	.loc	1 180 28 is_stmt 1              ; cross_entropy_aot.py:180:28
	v_add_u32_e32 v10, 0x1c00, v66
	.loc	1 182 24                        ; cross_entropy_aot.py:182:24
	v_ashrrev_i32_e32 v11, 31, v10
	.loc	1 182 16 is_stmt 0              ; cross_entropy_aot.py:182:16
	v_mov_b32_e32 v77, 0xff800000
	.loc	1 183 33 is_stmt 1              ; cross_entropy_aot.py:183:33
	v_cmp_gt_i32_e64 s[2:3], s17, v10
	.loc	1 182 24                        ; cross_entropy_aot.py:182:24
	v_lshl_add_u64 v[8:9], v[10:11], 2, s[36:37]
	v_mov_b32_e32 v78, v77
	.loc	1 182 16 is_stmt 0              ; cross_entropy_aot.py:182:16
	s_and_saveexec_b64 s[0:1], s[2:3]
	s_cbranch_execz .LBB0_82
; %bb.81:                               ;   in Loop: Header=BB0_52 Depth=1
	global_load_dword v78, v[8:9], off
.LBB0_82:                               ;   in Loop: Header=BB0_52 Depth=1
	.loc	1 0 16                          ; cross_entropy_aot.py:0:16
	s_or_b64 exec, exec, s[0:1]
	.loc	1 183 33 is_stmt 1              ; cross_entropy_aot.py:183:33
	v_add_u32_e32 v6, 0x1e00, v66
	.loc	1 182 24                        ; cross_entropy_aot.py:182:24
	v_ashrrev_i32_e32 v7, 31, v6
	.loc	1 183 33                        ; cross_entropy_aot.py:183:33
	v_cmp_gt_i32_e64 s[0:1], s17, v6
	.loc	1 182 24                        ; cross_entropy_aot.py:182:24
	v_lshl_add_u64 v[4:5], v[6:7], 2, s[36:37]
	.loc	1 182 16 is_stmt 0              ; cross_entropy_aot.py:182:16
	s_and_saveexec_b64 s[42:43], s[0:1]
	s_cbranch_execnz .LBB0_99
; %bb.83:                               ;   in Loop: Header=BB0_52 Depth=1
	.loc	1 0 16                          ; cross_entropy_aot.py:0:16
	s_or_b64 exec, exec, s[42:43]
	.loc	1 229 40 is_stmt 1              ; cross_entropy_aot.py:229:40
	s_and_saveexec_b64 s[42:43], vcc
	s_cbranch_execnz .LBB0_100
.LBB0_84:                               ;   in Loop: Header=BB0_52 Depth=1
	.loc	1 0 40 is_stmt 0                ; cross_entropy_aot.py:0:40
	s_or_b64 exec, exec, s[42:43]
	.loc	1 229 40                        ; cross_entropy_aot.py:229:40
	s_and_saveexec_b64 s[42:43], s[30:31]
	s_cbranch_execnz .LBB0_101
.LBB0_85:                               ;   in Loop: Header=BB0_52 Depth=1
	.loc	1 0 40                          ; cross_entropy_aot.py:0:40
	s_or_b64 exec, exec, s[42:43]
	.loc	1 229 40                        ; cross_entropy_aot.py:229:40
	s_and_saveexec_b64 s[30:31], s[28:29]
	s_cbranch_execnz .LBB0_102
.LBB0_86:                               ;   in Loop: Header=BB0_52 Depth=1
	.loc	1 0 40                          ; cross_entropy_aot.py:0:40
	s_or_b64 exec, exec, s[30:31]
	.loc	1 229 40                        ; cross_entropy_aot.py:229:40
	s_and_saveexec_b64 s[28:29], s[26:27]
	s_cbranch_execnz .LBB0_103
.LBB0_87:                               ;   in Loop: Header=BB0_52 Depth=1
	.loc	1 0 40                          ; cross_entropy_aot.py:0:40
	s_or_b64 exec, exec, s[28:29]
	.loc	1 229 40                        ; cross_entropy_aot.py:229:40
	s_and_saveexec_b64 s[26:27], s[24:25]
	s_cbranch_execnz .LBB0_104
.LBB0_88:                               ;   in Loop: Header=BB0_52 Depth=1
	.loc	1 0 40                          ; cross_entropy_aot.py:0:40
	s_or_b64 exec, exec, s[26:27]
	.loc	1 229 40                        ; cross_entropy_aot.py:229:40
	s_and_saveexec_b64 s[24:25], s[22:23]
	s_cbranch_execnz .LBB0_105
.LBB0_89:                               ;   in Loop: Header=BB0_52 Depth=1
	.loc	1 0 40                          ; cross_entropy_aot.py:0:40
	s_or_b64 exec, exec, s[24:25]
	.loc	1 229 40                        ; cross_entropy_aot.py:229:40
	s_and_saveexec_b64 s[22:23], s[20:21]
	s_cbranch_execnz .LBB0_106
.LBB0_90:                               ;   in Loop: Header=BB0_52 Depth=1
	.loc	1 0 40                          ; cross_entropy_aot.py:0:40
	s_or_b64 exec, exec, s[22:23]
	.loc	1 229 40                        ; cross_entropy_aot.py:229:40
	s_and_saveexec_b64 s[20:21], s[18:19]
	s_cbranch_execnz .LBB0_107
.LBB0_91:                               ;   in Loop: Header=BB0_52 Depth=1
	.loc	1 0 40                          ; cross_entropy_aot.py:0:40
	s_or_b64 exec, exec, s[20:21]
	.loc	1 229 40                        ; cross_entropy_aot.py:229:40
	s_and_saveexec_b64 s[18:19], s[34:35]
	s_cbranch_execnz .LBB0_108
.LBB0_92:                               ;   in Loop: Header=BB0_52 Depth=1
	.loc	1 0 40                          ; cross_entropy_aot.py:0:40
	s_or_b64 exec, exec, s[18:19]
	.loc	1 229 40                        ; cross_entropy_aot.py:229:40
	s_and_saveexec_b64 s[18:19], s[14:15]
	s_cbranch_execnz .LBB0_109
.LBB0_93:                               ;   in Loop: Header=BB0_52 Depth=1
	.loc	1 0 40                          ; cross_entropy_aot.py:0:40
	s_or_b64 exec, exec, s[18:19]
	.loc	1 229 40                        ; cross_entropy_aot.py:229:40
	s_and_saveexec_b64 s[14:15], s[10:11]
	s_cbranch_execnz .LBB0_110
.LBB0_94:                               ;   in Loop: Header=BB0_52 Depth=1
	.loc	1 0 40                          ; cross_entropy_aot.py:0:40
	s_or_b64 exec, exec, s[14:15]
	.loc	1 229 40                        ; cross_entropy_aot.py:229:40
	s_and_saveexec_b64 s[10:11], s[8:9]
	s_cbranch_execnz .LBB0_111
.LBB0_95:                               ;   in Loop: Header=BB0_52 Depth=1
	.loc	1 0 40                          ; cross_entropy_aot.py:0:40
	s_or_b64 exec, exec, s[10:11]
	.loc	1 229 40                        ; cross_entropy_aot.py:229:40
	s_and_saveexec_b64 s[8:9], s[6:7]
	s_cbranch_execnz .LBB0_112
.LBB0_96:                               ;   in Loop: Header=BB0_52 Depth=1
	.loc	1 0 40                          ; cross_entropy_aot.py:0:40
	s_or_b64 exec, exec, s[8:9]
	.loc	1 229 40                        ; cross_entropy_aot.py:229:40
	s_and_saveexec_b64 s[6:7], s[4:5]
	s_cbranch_execnz .LBB0_113
.LBB0_97:                               ;   in Loop: Header=BB0_52 Depth=1
	.loc	1 0 40                          ; cross_entropy_aot.py:0:40
	s_or_b64 exec, exec, s[6:7]
	.loc	1 229 40                        ; cross_entropy_aot.py:229:40
	s_and_saveexec_b64 s[4:5], s[2:3]
	s_cbranch_execnz .LBB0_114
.LBB0_98:                               ;   in Loop: Header=BB0_52 Depth=1
	.loc	1 0 40                          ; cross_entropy_aot.py:0:40
	s_or_b64 exec, exec, s[4:5]
	.loc	1 229 40                        ; cross_entropy_aot.py:229:40
	s_and_saveexec_b64 s[2:3], s[0:1]
	s_cbranch_execz .LBB0_51
	s_branch .LBB0_115
.LBB0_99:                               ;   in Loop: Header=BB0_52 Depth=1
	.loc	1 182 16 is_stmt 1              ; cross_entropy_aot.py:182:16
	global_load_dword v77, v[4:5], off
	s_or_b64 exec, exec, s[42:43]
	.loc	1 229 40                        ; cross_entropy_aot.py:229:40
	s_and_saveexec_b64 s[42:43], vcc
	s_cbranch_execz .LBB0_84
.LBB0_100:                              ;   in Loop: Header=BB0_52 Depth=1
	.loc	1 193 43                        ; cross_entropy_aot.py:193:43
	s_waitcnt vmcnt(0)
	v_sub_f32_e32 v91, v91, v69
	.loc	1 193 33 is_stmt 0              ; cross_entropy_aot.py:193:33
	v_mul_f32_e32 v92, 0x3fb8aa3b, v91
	v_cmp_gt_f32_e32 vcc, s46, v92
	s_nop 1
	v_cndmask_b32_e32 v92, 0, v75, vcc
	v_fmac_f32_e32 v92, 0x3fb8aa3b, v91
	v_exp_f32_e32 v91, v92
	v_cndmask_b32_e32 v92, 0, v76, vcc
	v_ldexp_f32 v91, v91, v92
	.loc	1 193 48                        ; cross_entropy_aot.py:193:48
	v_div_scale_f32 v92, s[48:49], v70, v70, v91
	v_rcp_f32_e32 v93, v92
	v_div_scale_f32 v94, vcc, v91, v70, v91
	v_fma_f32 v95, -v92, v93, 1.0
	v_fmac_f32_e32 v93, v95, v93
	v_mul_f32_e32 v95, v94, v93
	v_fma_f32 v96, -v92, v95, v94
	v_fmac_f32_e32 v95, v96, v93
	v_fma_f32 v92, -v92, v95, v94
	v_div_fmas_f32 v92, v92, v93, v95
	v_div_fixup_f32 v91, v92, v70, v91
	.loc	1 195 27 is_stmt 1              ; cross_entropy_aot.py:195:27
	v_fmac_f32_e32 v91, v73, v91
	.loc	1 197 27                        ; cross_entropy_aot.py:197:27
	v_add_f32_e32 v91, v74, v91
	.loc	1 199 71                        ; cross_entropy_aot.py:199:71
	v_add_f32_e32 v92, -1.0, v91
	.loc	1 199 48 is_stmt 0              ; cross_entropy_aot.py:199:48
	v_cmp_eq_u64_e32 vcc, s[38:39], v[66:67]
	.loc	1 199 60                        ; cross_entropy_aot.py:199:60
	s_nop 1
	v_cndmask_b32_e32 v66, v91, v92, vcc
	.loc	1 202 40 is_stmt 1              ; cross_entropy_aot.py:202:40
	v_div_scale_f32 v67, s[48:49], v71, v71, v66
	v_rcp_f32_e32 v91, v67
	s_nop 0
	v_fma_f32 v92, -v67, v91, 1.0
	v_fmac_f32_e32 v91, v92, v91
	v_div_scale_f32 v92, vcc, v66, v71, v66
	v_mul_f32_e32 v93, v92, v91
	v_fma_f32 v94, -v67, v93, v92
	v_fmac_f32_e32 v93, v94, v91
	v_fma_f32 v67, -v67, v93, v92
	v_div_fmas_f32 v67, v67, v91, v93
	v_div_fixup_f32 v66, v67, v71, v66
	.loc	1 229 40                        ; cross_entropy_aot.py:229:40
	global_store_dword v[64:65], v66, off
	s_or_b64 exec, exec, s[42:43]
	s_and_saveexec_b64 s[42:43], s[30:31]
	s_cbranch_execz .LBB0_85
.LBB0_101:                              ;   in Loop: Header=BB0_52 Depth=1
	.loc	1 193 43                        ; cross_entropy_aot.py:193:43
	s_waitcnt vmcnt(0)
	v_sub_f32_e32 v63, v63, v69
	.loc	1 193 33 is_stmt 0              ; cross_entropy_aot.py:193:33
	v_mul_f32_e32 v64, 0x3fb8aa3b, v63
	v_cmp_gt_f32_e32 vcc, s46, v64
	s_nop 1
	v_cndmask_b32_e32 v64, 0, v75, vcc
	v_fmac_f32_e32 v64, 0x3fb8aa3b, v63
	v_exp_f32_e32 v63, v64
	v_cndmask_b32_e32 v64, 0, v76, vcc
	v_ldexp_f32 v64, v63, v64
	.loc	1 193 48                        ; cross_entropy_aot.py:193:48
	v_div_scale_f32 v65, s[30:31], v70, v70, v64
	v_rcp_f32_e32 v66, v65
	v_div_scale_f32 v67, vcc, v64, v70, v64
	.loc	1 182 24 is_stmt 1              ; cross_entropy_aot.py:182:24
	v_ashrrev_i32_e32 v63, 31, v62
	.loc	1 193 48                        ; cross_entropy_aot.py:193:48
	v_fma_f32 v91, -v65, v66, 1.0
	v_fmac_f32_e32 v66, v91, v66
	v_mul_f32_e32 v91, v67, v66
	v_fma_f32 v92, -v65, v91, v67
	v_fmac_f32_e32 v91, v92, v66
	v_fma_f32 v65, -v65, v91, v67
	v_div_fmas_f32 v65, v65, v66, v91
	v_div_fixup_f32 v64, v65, v70, v64
	.loc	1 195 27                        ; cross_entropy_aot.py:195:27
	v_fmac_f32_e32 v64, v73, v64
	.loc	1 197 27                        ; cross_entropy_aot.py:197:27
	v_add_f32_e32 v64, v74, v64
	.loc	1 199 71                        ; cross_entropy_aot.py:199:71
	v_add_f32_e32 v65, -1.0, v64
	.loc	1 199 48 is_stmt 0              ; cross_entropy_aot.py:199:48
	v_cmp_eq_u64_e32 vcc, s[38:39], v[62:63]
	.loc	1 199 60                        ; cross_entropy_aot.py:199:60
	s_nop 1
	v_cndmask_b32_e32 v62, v64, v65, vcc
	.loc	1 202 40 is_stmt 1              ; cross_entropy_aot.py:202:40
	v_div_scale_f32 v63, s[30:31], v71, v71, v62
	v_rcp_f32_e32 v64, v63
	s_nop 0
	v_fma_f32 v65, -v63, v64, 1.0
	v_fmac_f32_e32 v64, v65, v64
	v_div_scale_f32 v65, vcc, v62, v71, v62
	v_mul_f32_e32 v66, v65, v64
	v_fma_f32 v67, -v63, v66, v65
	v_fmac_f32_e32 v66, v67, v64
	v_fma_f32 v63, -v63, v66, v65
	v_div_fmas_f32 v63, v63, v64, v66
	v_div_fixup_f32 v62, v63, v71, v62
	.loc	1 229 40                        ; cross_entropy_aot.py:229:40
	global_store_dword v[60:61], v62, off offset:2048
	s_or_b64 exec, exec, s[42:43]
	s_and_saveexec_b64 s[30:31], s[28:29]
	s_cbranch_execz .LBB0_86
.LBB0_102:                              ;   in Loop: Header=BB0_52 Depth=1
	.loc	1 193 43                        ; cross_entropy_aot.py:193:43
	s_waitcnt vmcnt(0)
	v_sub_f32_e32 v60, v90, v69
	.loc	1 193 33 is_stmt 0              ; cross_entropy_aot.py:193:33
	v_mul_f32_e32 v61, 0x3fb8aa3b, v60
	v_cmp_gt_f32_e32 vcc, s46, v61
	s_nop 1
	v_cndmask_b32_e32 v61, 0, v75, vcc
	v_fmac_f32_e32 v61, 0x3fb8aa3b, v60
	v_exp_f32_e32 v60, v61
	v_cndmask_b32_e32 v61, 0, v76, vcc
	v_ldexp_f32 v60, v60, v61
	.loc	1 193 48                        ; cross_entropy_aot.py:193:48
	v_div_scale_f32 v61, s[28:29], v70, v70, v60
	v_rcp_f32_e32 v62, v61
	v_div_scale_f32 v63, vcc, v60, v70, v60
	v_fma_f32 v64, -v61, v62, 1.0
	v_fmac_f32_e32 v62, v64, v62
	v_mul_f32_e32 v64, v63, v62
	v_fma_f32 v65, -v61, v64, v63
	v_fmac_f32_e32 v64, v65, v62
	v_fma_f32 v61, -v61, v64, v63
	v_div_fmas_f32 v61, v61, v62, v64
	v_div_fixup_f32 v60, v61, v70, v60
	.loc	1 195 27 is_stmt 1              ; cross_entropy_aot.py:195:27
	v_fmac_f32_e32 v60, v73, v60
	.loc	1 197 27                        ; cross_entropy_aot.py:197:27
	v_add_f32_e32 v60, v74, v60
	.loc	1 199 71                        ; cross_entropy_aot.py:199:71
	v_add_f32_e32 v61, -1.0, v60
	.loc	1 199 48 is_stmt 0              ; cross_entropy_aot.py:199:48
	v_cmp_eq_u64_e32 vcc, s[38:39], v[58:59]
	.loc	1 199 60                        ; cross_entropy_aot.py:199:60
	s_nop 1
	v_cndmask_b32_e32 v58, v60, v61, vcc
	.loc	1 202 40 is_stmt 1              ; cross_entropy_aot.py:202:40
	v_div_scale_f32 v59, s[28:29], v71, v71, v58
	v_rcp_f32_e32 v60, v59
	s_nop 0
	v_fma_f32 v61, -v59, v60, 1.0
	v_fmac_f32_e32 v60, v61, v60
	v_div_scale_f32 v61, vcc, v58, v71, v58
	v_mul_f32_e32 v62, v61, v60
	v_fma_f32 v63, -v59, v62, v61
	v_fmac_f32_e32 v62, v63, v60
	v_fma_f32 v59, -v59, v62, v61
	v_div_fmas_f32 v59, v59, v60, v62
	v_div_fixup_f32 v58, v59, v71, v58
	.loc	1 229 40                        ; cross_entropy_aot.py:229:40
	global_store_dword v[56:57], v58, off
	s_or_b64 exec, exec, s[30:31]
	s_and_saveexec_b64 s[28:29], s[26:27]
	s_cbranch_execz .LBB0_87
.LBB0_103:                              ;   in Loop: Header=BB0_52 Depth=1
	.loc	1 193 43                        ; cross_entropy_aot.py:193:43
	s_waitcnt vmcnt(0)
	v_sub_f32_e32 v56, v89, v69
	.loc	1 193 33 is_stmt 0              ; cross_entropy_aot.py:193:33
	v_mul_f32_e32 v57, 0x3fb8aa3b, v56
	v_cmp_gt_f32_e32 vcc, s46, v57
	s_nop 1
	v_cndmask_b32_e32 v57, 0, v75, vcc
	v_fmac_f32_e32 v57, 0x3fb8aa3b, v56
	v_exp_f32_e32 v56, v57
	v_cndmask_b32_e32 v57, 0, v76, vcc
	v_ldexp_f32 v56, v56, v57
	.loc	1 193 48                        ; cross_entropy_aot.py:193:48
	v_div_scale_f32 v57, s[26:27], v70, v70, v56
	v_rcp_f32_e32 v58, v57
	v_div_scale_f32 v59, vcc, v56, v70, v56
	v_fma_f32 v60, -v57, v58, 1.0
	v_fmac_f32_e32 v58, v60, v58
	v_mul_f32_e32 v60, v59, v58
	v_fma_f32 v61, -v57, v60, v59
	v_fmac_f32_e32 v60, v61, v58
	v_fma_f32 v57, -v57, v60, v59
	v_div_fmas_f32 v57, v57, v58, v60
	v_div_fixup_f32 v56, v57, v70, v56
	.loc	1 195 27 is_stmt 1              ; cross_entropy_aot.py:195:27
	v_fmac_f32_e32 v56, v73, v56
	.loc	1 197 27                        ; cross_entropy_aot.py:197:27
	v_add_f32_e32 v56, v74, v56
	.loc	1 199 71                        ; cross_entropy_aot.py:199:71
	v_add_f32_e32 v57, -1.0, v56
	.loc	1 199 48 is_stmt 0              ; cross_entropy_aot.py:199:48
	v_cmp_eq_u64_e32 vcc, s[38:39], v[54:55]
	.loc	1 199 60                        ; cross_entropy_aot.py:199:60
	s_nop 1
	v_cndmask_b32_e32 v54, v56, v57, vcc
	.loc	1 202 40 is_stmt 1              ; cross_entropy_aot.py:202:40
	v_div_scale_f32 v55, s[26:27], v71, v71, v54
	v_rcp_f32_e32 v56, v55
	s_nop 0
	v_fma_f32 v57, -v55, v56, 1.0
	v_fmac_f32_e32 v56, v57, v56
	v_div_scale_f32 v57, vcc, v54, v71, v54
	v_mul_f32_e32 v58, v57, v56
	v_fma_f32 v59, -v55, v58, v57
	v_fmac_f32_e32 v58, v59, v56
	v_fma_f32 v55, -v55, v58, v57
	v_div_fmas_f32 v55, v55, v56, v58
	v_div_fixup_f32 v54, v55, v71, v54
	.loc	1 229 40                        ; cross_entropy_aot.py:229:40
	global_store_dword v[52:53], v54, off
	s_or_b64 exec, exec, s[28:29]
	s_and_saveexec_b64 s[26:27], s[24:25]
	s_cbranch_execz .LBB0_88
.LBB0_104:                              ;   in Loop: Header=BB0_52 Depth=1
	.loc	1 193 43                        ; cross_entropy_aot.py:193:43
	s_waitcnt vmcnt(0)
	v_sub_f32_e32 v52, v88, v69
	.loc	1 193 33 is_stmt 0              ; cross_entropy_aot.py:193:33
	v_mul_f32_e32 v53, 0x3fb8aa3b, v52
	v_cmp_gt_f32_e32 vcc, s46, v53
	s_nop 1
	v_cndmask_b32_e32 v53, 0, v75, vcc
	v_fmac_f32_e32 v53, 0x3fb8aa3b, v52
	v_exp_f32_e32 v52, v53
	v_cndmask_b32_e32 v53, 0, v76, vcc
	v_ldexp_f32 v52, v52, v53
	.loc	1 193 48                        ; cross_entropy_aot.py:193:48
	v_div_scale_f32 v53, s[24:25], v70, v70, v52
	v_rcp_f32_e32 v54, v53
	v_div_scale_f32 v55, vcc, v52, v70, v52
	v_fma_f32 v56, -v53, v54, 1.0
	v_fmac_f32_e32 v54, v56, v54
	v_mul_f32_e32 v56, v55, v54
	v_fma_f32 v57, -v53, v56, v55
	v_fmac_f32_e32 v56, v57, v54
	v_fma_f32 v53, -v53, v56, v55
	v_div_fmas_f32 v53, v53, v54, v56
	v_div_fixup_f32 v52, v53, v70, v52
	.loc	1 195 27 is_stmt 1              ; cross_entropy_aot.py:195:27
	v_fmac_f32_e32 v52, v73, v52
	.loc	1 197 27                        ; cross_entropy_aot.py:197:27
	v_add_f32_e32 v52, v74, v52
	.loc	1 199 71                        ; cross_entropy_aot.py:199:71
	v_add_f32_e32 v53, -1.0, v52
	.loc	1 199 48 is_stmt 0              ; cross_entropy_aot.py:199:48
	v_cmp_eq_u64_e32 vcc, s[38:39], v[50:51]
	.loc	1 199 60                        ; cross_entropy_aot.py:199:60
	s_nop 1
	v_cndmask_b32_e32 v50, v52, v53, vcc
	.loc	1 202 40 is_stmt 1              ; cross_entropy_aot.py:202:40
	v_div_scale_f32 v51, s[24:25], v71, v71, v50
	v_rcp_f32_e32 v52, v51
	s_nop 0
	v_fma_f32 v53, -v51, v52, 1.0
	v_fmac_f32_e32 v52, v53, v52
	v_div_scale_f32 v53, vcc, v50, v71, v50
	v_mul_f32_e32 v54, v53, v52
	v_fma_f32 v55, -v51, v54, v53
	v_fmac_f32_e32 v54, v55, v52
	v_fma_f32 v51, -v51, v54, v53
	v_div_fmas_f32 v51, v51, v52, v54
	v_div_fixup_f32 v50, v51, v71, v50
	.loc	1 229 40                        ; cross_entropy_aot.py:229:40
	global_store_dword v[48:49], v50, off
	s_or_b64 exec, exec, s[26:27]
	s_and_saveexec_b64 s[24:25], s[22:23]
	s_cbranch_execz .LBB0_89
.LBB0_105:                              ;   in Loop: Header=BB0_52 Depth=1
	.loc	1 193 43                        ; cross_entropy_aot.py:193:43
	s_waitcnt vmcnt(0)
	v_sub_f32_e32 v48, v87, v69
	.loc	1 193 33 is_stmt 0              ; cross_entropy_aot.py:193:33
	v_mul_f32_e32 v49, 0x3fb8aa3b, v48
	v_cmp_gt_f32_e32 vcc, s46, v49
	s_nop 1
	v_cndmask_b32_e32 v49, 0, v75, vcc
	v_fmac_f32_e32 v49, 0x3fb8aa3b, v48
	v_exp_f32_e32 v48, v49
	v_cndmask_b32_e32 v49, 0, v76, vcc
	v_ldexp_f32 v48, v48, v49
	.loc	1 193 48                        ; cross_entropy_aot.py:193:48
	v_div_scale_f32 v49, s[22:23], v70, v70, v48
	v_rcp_f32_e32 v50, v49
	v_div_scale_f32 v51, vcc, v48, v70, v48
	v_fma_f32 v52, -v49, v50, 1.0
	v_fmac_f32_e32 v50, v52, v50
	v_mul_f32_e32 v52, v51, v50
	v_fma_f32 v53, -v49, v52, v51
	v_fmac_f32_e32 v52, v53, v50
	v_fma_f32 v49, -v49, v52, v51
	v_div_fmas_f32 v49, v49, v50, v52
	v_div_fixup_f32 v48, v49, v70, v48
	.loc	1 195 27 is_stmt 1              ; cross_entropy_aot.py:195:27
	v_fmac_f32_e32 v48, v73, v48
	.loc	1 197 27                        ; cross_entropy_aot.py:197:27
	v_add_f32_e32 v48, v74, v48
	.loc	1 199 71                        ; cross_entropy_aot.py:199:71
	v_add_f32_e32 v49, -1.0, v48
	.loc	1 199 48 is_stmt 0              ; cross_entropy_aot.py:199:48
	v_cmp_eq_u64_e32 vcc, s[38:39], v[46:47]
	.loc	1 199 60                        ; cross_entropy_aot.py:199:60
	s_nop 1
	v_cndmask_b32_e32 v46, v48, v49, vcc
	.loc	1 202 40 is_stmt 1              ; cross_entropy_aot.py:202:40
	v_div_scale_f32 v47, s[22:23], v71, v71, v46
	v_rcp_f32_e32 v48, v47
	s_nop 0
	v_fma_f32 v49, -v47, v48, 1.0
	v_fmac_f32_e32 v48, v49, v48
	v_div_scale_f32 v49, vcc, v46, v71, v46
	v_mul_f32_e32 v50, v49, v48
	v_fma_f32 v51, -v47, v50, v49
	v_fmac_f32_e32 v50, v51, v48
	v_fma_f32 v47, -v47, v50, v49
	v_div_fmas_f32 v47, v47, v48, v50
	v_div_fixup_f32 v46, v47, v71, v46
	.loc	1 229 40                        ; cross_entropy_aot.py:229:40
	global_store_dword v[44:45], v46, off
	s_or_b64 exec, exec, s[24:25]
	s_and_saveexec_b64 s[22:23], s[20:21]
	s_cbranch_execz .LBB0_90
.LBB0_106:                              ;   in Loop: Header=BB0_52 Depth=1
	.loc	1 193 43                        ; cross_entropy_aot.py:193:43
	s_waitcnt vmcnt(0)
	v_sub_f32_e32 v44, v86, v69
	.loc	1 193 33 is_stmt 0              ; cross_entropy_aot.py:193:33
	v_mul_f32_e32 v45, 0x3fb8aa3b, v44
	v_cmp_gt_f32_e32 vcc, s46, v45
	s_nop 1
	v_cndmask_b32_e32 v45, 0, v75, vcc
	v_fmac_f32_e32 v45, 0x3fb8aa3b, v44
	v_exp_f32_e32 v44, v45
	v_cndmask_b32_e32 v45, 0, v76, vcc
	v_ldexp_f32 v44, v44, v45
	.loc	1 193 48                        ; cross_entropy_aot.py:193:48
	v_div_scale_f32 v45, s[20:21], v70, v70, v44
	v_rcp_f32_e32 v46, v45
	v_div_scale_f32 v47, vcc, v44, v70, v44
	v_fma_f32 v48, -v45, v46, 1.0
	v_fmac_f32_e32 v46, v48, v46
	v_mul_f32_e32 v48, v47, v46
	v_fma_f32 v49, -v45, v48, v47
	v_fmac_f32_e32 v48, v49, v46
	v_fma_f32 v45, -v45, v48, v47
	v_div_fmas_f32 v45, v45, v46, v48
	v_div_fixup_f32 v44, v45, v70, v44
	.loc	1 195 27 is_stmt 1              ; cross_entropy_aot.py:195:27
	v_fmac_f32_e32 v44, v73, v44
	.loc	1 197 27                        ; cross_entropy_aot.py:197:27
	v_add_f32_e32 v44, v74, v44
	.loc	1 199 71                        ; cross_entropy_aot.py:199:71
	v_add_f32_e32 v45, -1.0, v44
	.loc	1 199 48 is_stmt 0              ; cross_entropy_aot.py:199:48
	v_cmp_eq_u64_e32 vcc, s[38:39], v[42:43]
	.loc	1 199 60                        ; cross_entropy_aot.py:199:60
	s_nop 1
	v_cndmask_b32_e32 v42, v44, v45, vcc
	.loc	1 202 40 is_stmt 1              ; cross_entropy_aot.py:202:40
	v_div_scale_f32 v43, s[20:21], v71, v71, v42
	v_rcp_f32_e32 v44, v43
	s_nop 0
	v_fma_f32 v45, -v43, v44, 1.0
	v_fmac_f32_e32 v44, v45, v44
	v_div_scale_f32 v45, vcc, v42, v71, v42
	v_mul_f32_e32 v46, v45, v44
	v_fma_f32 v47, -v43, v46, v45
	v_fmac_f32_e32 v46, v47, v44
	v_fma_f32 v43, -v43, v46, v45
	v_div_fmas_f32 v43, v43, v44, v46
	v_div_fixup_f32 v42, v43, v71, v42
	.loc	1 229 40                        ; cross_entropy_aot.py:229:40
	global_store_dword v[40:41], v42, off
	s_or_b64 exec, exec, s[22:23]
	s_and_saveexec_b64 s[20:21], s[18:19]
	s_cbranch_execz .LBB0_91
.LBB0_107:                              ;   in Loop: Header=BB0_52 Depth=1
	.loc	1 193 43                        ; cross_entropy_aot.py:193:43
	s_waitcnt vmcnt(0)
	v_sub_f32_e32 v40, v85, v69
	.loc	1 193 33 is_stmt 0              ; cross_entropy_aot.py:193:33
	v_mul_f32_e32 v41, 0x3fb8aa3b, v40
	v_cmp_gt_f32_e32 vcc, s46, v41
	s_nop 1
	v_cndmask_b32_e32 v41, 0, v75, vcc
	v_fmac_f32_e32 v41, 0x3fb8aa3b, v40
	v_exp_f32_e32 v40, v41
	v_cndmask_b32_e32 v41, 0, v76, vcc
	v_ldexp_f32 v40, v40, v41
	.loc	1 193 48                        ; cross_entropy_aot.py:193:48
	v_div_scale_f32 v41, s[18:19], v70, v70, v40
	v_rcp_f32_e32 v42, v41
	v_div_scale_f32 v43, vcc, v40, v70, v40
	v_fma_f32 v44, -v41, v42, 1.0
	v_fmac_f32_e32 v42, v44, v42
	v_mul_f32_e32 v44, v43, v42
	v_fma_f32 v45, -v41, v44, v43
	v_fmac_f32_e32 v44, v45, v42
	v_fma_f32 v41, -v41, v44, v43
	v_div_fmas_f32 v41, v41, v42, v44
	v_div_fixup_f32 v40, v41, v70, v40
	.loc	1 195 27 is_stmt 1              ; cross_entropy_aot.py:195:27
	v_fmac_f32_e32 v40, v73, v40
	.loc	1 197 27                        ; cross_entropy_aot.py:197:27
	v_add_f32_e32 v40, v74, v40
	.loc	1 199 71                        ; cross_entropy_aot.py:199:71
	v_add_f32_e32 v41, -1.0, v40
	.loc	1 199 48 is_stmt 0              ; cross_entropy_aot.py:199:48
	v_cmp_eq_u64_e32 vcc, s[38:39], v[38:39]
	.loc	1 199 60                        ; cross_entropy_aot.py:199:60
	s_nop 1
	v_cndmask_b32_e32 v38, v40, v41, vcc
	.loc	1 202 40 is_stmt 1              ; cross_entropy_aot.py:202:40
	v_div_scale_f32 v39, s[18:19], v71, v71, v38
	v_rcp_f32_e32 v40, v39
	s_nop 0
	v_fma_f32 v41, -v39, v40, 1.0
	v_fmac_f32_e32 v40, v41, v40
	v_div_scale_f32 v41, vcc, v38, v71, v38
	v_mul_f32_e32 v42, v41, v40
	v_fma_f32 v43, -v39, v42, v41
	v_fmac_f32_e32 v42, v43, v40
	v_fma_f32 v39, -v39, v42, v41
	v_div_fmas_f32 v39, v39, v40, v42
	v_div_fixup_f32 v38, v39, v71, v38
	.loc	1 229 40                        ; cross_entropy_aot.py:229:40
	global_store_dword v[36:37], v38, off
	s_or_b64 exec, exec, s[20:21]
	s_and_saveexec_b64 s[18:19], s[34:35]
	s_cbranch_execz .LBB0_92
.LBB0_108:                              ;   in Loop: Header=BB0_52 Depth=1
	.loc	1 193 43                        ; cross_entropy_aot.py:193:43
	s_waitcnt vmcnt(0)
	v_sub_f32_e32 v36, v84, v69
	.loc	1 193 33 is_stmt 0              ; cross_entropy_aot.py:193:33
	v_mul_f32_e32 v37, 0x3fb8aa3b, v36
	v_cmp_gt_f32_e32 vcc, s46, v37
	s_nop 1
	v_cndmask_b32_e32 v37, 0, v75, vcc
	v_fmac_f32_e32 v37, 0x3fb8aa3b, v36
	v_exp_f32_e32 v36, v37
	v_cndmask_b32_e32 v37, 0, v76, vcc
	v_ldexp_f32 v36, v36, v37
	.loc	1 193 48                        ; cross_entropy_aot.py:193:48
	v_div_scale_f32 v37, s[20:21], v70, v70, v36
	v_rcp_f32_e32 v38, v37
	v_div_scale_f32 v39, vcc, v36, v70, v36
	v_fma_f32 v40, -v37, v38, 1.0
	v_fmac_f32_e32 v38, v40, v38
	v_mul_f32_e32 v40, v39, v38
	v_fma_f32 v41, -v37, v40, v39
	v_fmac_f32_e32 v40, v41, v38
	v_fma_f32 v37, -v37, v40, v39
	v_div_fmas_f32 v37, v37, v38, v40
	v_div_fixup_f32 v36, v37, v70, v36
	.loc	1 195 27 is_stmt 1              ; cross_entropy_aot.py:195:27
	v_fmac_f32_e32 v36, v73, v36
	.loc	1 197 27                        ; cross_entropy_aot.py:197:27
	v_add_f32_e32 v36, v74, v36
	.loc	1 199 71                        ; cross_entropy_aot.py:199:71
	v_add_f32_e32 v37, -1.0, v36
	.loc	1 199 48 is_stmt 0              ; cross_entropy_aot.py:199:48
	v_cmp_eq_u64_e32 vcc, s[38:39], v[34:35]
	.loc	1 199 60                        ; cross_entropy_aot.py:199:60
	s_nop 1
	v_cndmask_b32_e32 v34, v36, v37, vcc
	.loc	1 202 40 is_stmt 1              ; cross_entropy_aot.py:202:40
	v_div_scale_f32 v35, s[20:21], v71, v71, v34
	v_rcp_f32_e32 v36, v35
	s_nop 0
	v_fma_f32 v37, -v35, v36, 1.0
	v_fmac_f32_e32 v36, v37, v36
	v_div_scale_f32 v37, vcc, v34, v71, v34
	v_mul_f32_e32 v38, v37, v36
	v_fma_f32 v39, -v35, v38, v37
	v_fmac_f32_e32 v38, v39, v36
	v_fma_f32 v35, -v35, v38, v37
	v_div_fmas_f32 v35, v35, v36, v38
	v_div_fixup_f32 v34, v35, v71, v34
	.loc	1 229 40                        ; cross_entropy_aot.py:229:40
	global_store_dword v[32:33], v34, off
	s_or_b64 exec, exec, s[18:19]
	s_and_saveexec_b64 s[18:19], s[14:15]
	s_cbranch_execz .LBB0_93
.LBB0_109:                              ;   in Loop: Header=BB0_52 Depth=1
	.loc	1 193 43                        ; cross_entropy_aot.py:193:43
	s_waitcnt vmcnt(0)
	v_sub_f32_e32 v32, v83, v69
	.loc	1 193 33 is_stmt 0              ; cross_entropy_aot.py:193:33
	v_mul_f32_e32 v33, 0x3fb8aa3b, v32
	v_cmp_gt_f32_e32 vcc, s46, v33
	s_nop 1
	v_cndmask_b32_e32 v33, 0, v75, vcc
	v_fmac_f32_e32 v33, 0x3fb8aa3b, v32
	v_exp_f32_e32 v32, v33
	v_cndmask_b32_e32 v33, 0, v76, vcc
	v_ldexp_f32 v32, v32, v33
	.loc	1 193 48                        ; cross_entropy_aot.py:193:48
	v_div_scale_f32 v33, s[14:15], v70, v70, v32
	v_rcp_f32_e32 v34, v33
	v_div_scale_f32 v35, vcc, v32, v70, v32
	v_fma_f32 v36, -v33, v34, 1.0
	v_fmac_f32_e32 v34, v36, v34
	v_mul_f32_e32 v36, v35, v34
	v_fma_f32 v37, -v33, v36, v35
	v_fmac_f32_e32 v36, v37, v34
	v_fma_f32 v33, -v33, v36, v35
	v_div_fmas_f32 v33, v33, v34, v36
	v_div_fixup_f32 v32, v33, v70, v32
	.loc	1 195 27 is_stmt 1              ; cross_entropy_aot.py:195:27
	v_fmac_f32_e32 v32, v73, v32
	.loc	1 197 27                        ; cross_entropy_aot.py:197:27
	v_add_f32_e32 v32, v74, v32
	.loc	1 199 71                        ; cross_entropy_aot.py:199:71
	v_add_f32_e32 v33, -1.0, v32
	.loc	1 199 48 is_stmt 0              ; cross_entropy_aot.py:199:48
	v_cmp_eq_u64_e32 vcc, s[38:39], v[30:31]
	.loc	1 199 60                        ; cross_entropy_aot.py:199:60
	s_nop 1
	v_cndmask_b32_e32 v30, v32, v33, vcc
	.loc	1 202 40 is_stmt 1              ; cross_entropy_aot.py:202:40
	v_div_scale_f32 v31, s[14:15], v71, v71, v30
	v_rcp_f32_e32 v32, v31
	s_nop 0
	v_fma_f32 v33, -v31, v32, 1.0
	v_fmac_f32_e32 v32, v33, v32
	v_div_scale_f32 v33, vcc, v30, v71, v30
	v_mul_f32_e32 v34, v33, v32
	v_fma_f32 v35, -v31, v34, v33
	v_fmac_f32_e32 v34, v35, v32
	v_fma_f32 v31, -v31, v34, v33
	v_div_fmas_f32 v31, v31, v32, v34
	v_div_fixup_f32 v30, v31, v71, v30
	.loc	1 229 40                        ; cross_entropy_aot.py:229:40
	global_store_dword v[28:29], v30, off
	s_or_b64 exec, exec, s[18:19]
	s_and_saveexec_b64 s[14:15], s[10:11]
	s_cbranch_execz .LBB0_94
.LBB0_110:                              ;   in Loop: Header=BB0_52 Depth=1
	.loc	1 193 43                        ; cross_entropy_aot.py:193:43
	s_waitcnt vmcnt(0)
	v_sub_f32_e32 v28, v82, v69
	.loc	1 193 33 is_stmt 0              ; cross_entropy_aot.py:193:33
	v_mul_f32_e32 v29, 0x3fb8aa3b, v28
	v_cmp_gt_f32_e32 vcc, s46, v29
	s_nop 1
	v_cndmask_b32_e32 v29, 0, v75, vcc
	v_fmac_f32_e32 v29, 0x3fb8aa3b, v28
	v_exp_f32_e32 v28, v29
	v_cndmask_b32_e32 v29, 0, v76, vcc
	v_ldexp_f32 v28, v28, v29
	.loc	1 193 48                        ; cross_entropy_aot.py:193:48
	v_div_scale_f32 v29, s[10:11], v70, v70, v28
	v_rcp_f32_e32 v30, v29
	v_div_scale_f32 v31, vcc, v28, v70, v28
	v_fma_f32 v32, -v29, v30, 1.0
	v_fmac_f32_e32 v30, v32, v30
	v_mul_f32_e32 v32, v31, v30
	v_fma_f32 v33, -v29, v32, v31
	v_fmac_f32_e32 v32, v33, v30
	v_fma_f32 v29, -v29, v32, v31
	v_div_fmas_f32 v29, v29, v30, v32
	v_div_fixup_f32 v28, v29, v70, v28
	.loc	1 195 27 is_stmt 1              ; cross_entropy_aot.py:195:27
	v_fmac_f32_e32 v28, v73, v28
	.loc	1 197 27                        ; cross_entropy_aot.py:197:27
	v_add_f32_e32 v28, v74, v28
	.loc	1 199 71                        ; cross_entropy_aot.py:199:71
	v_add_f32_e32 v29, -1.0, v28
	.loc	1 199 48 is_stmt 0              ; cross_entropy_aot.py:199:48
	v_cmp_eq_u64_e32 vcc, s[38:39], v[26:27]
	.loc	1 199 60                        ; cross_entropy_aot.py:199:60
	s_nop 1
	v_cndmask_b32_e32 v26, v28, v29, vcc
	.loc	1 202 40 is_stmt 1              ; cross_entropy_aot.py:202:40
	v_div_scale_f32 v27, s[10:11], v71, v71, v26
	v_rcp_f32_e32 v28, v27
	s_nop 0
	v_fma_f32 v29, -v27, v28, 1.0
	v_fmac_f32_e32 v28, v29, v28
	v_div_scale_f32 v29, vcc, v26, v71, v26
	v_mul_f32_e32 v30, v29, v28
	v_fma_f32 v31, -v27, v30, v29
	v_fmac_f32_e32 v30, v31, v28
	v_fma_f32 v27, -v27, v30, v29
	v_div_fmas_f32 v27, v27, v28, v30
	v_div_fixup_f32 v26, v27, v71, v26
	.loc	1 229 40                        ; cross_entropy_aot.py:229:40
	global_store_dword v[24:25], v26, off
	s_or_b64 exec, exec, s[14:15]
	s_and_saveexec_b64 s[10:11], s[8:9]
	s_cbranch_execz .LBB0_95
.LBB0_111:                              ;   in Loop: Header=BB0_52 Depth=1
	.loc	1 193 43                        ; cross_entropy_aot.py:193:43
	s_waitcnt vmcnt(0)
	v_sub_f32_e32 v24, v81, v69
	.loc	1 193 33 is_stmt 0              ; cross_entropy_aot.py:193:33
	v_mul_f32_e32 v25, 0x3fb8aa3b, v24
	v_cmp_gt_f32_e32 vcc, s46, v25
	s_nop 1
	v_cndmask_b32_e32 v25, 0, v75, vcc
	v_fmac_f32_e32 v25, 0x3fb8aa3b, v24
	v_exp_f32_e32 v24, v25
	v_cndmask_b32_e32 v25, 0, v76, vcc
	v_ldexp_f32 v24, v24, v25
	.loc	1 193 48                        ; cross_entropy_aot.py:193:48
	v_div_scale_f32 v25, s[8:9], v70, v70, v24
	v_rcp_f32_e32 v26, v25
	v_div_scale_f32 v27, vcc, v24, v70, v24
	v_fma_f32 v28, -v25, v26, 1.0
	v_fmac_f32_e32 v26, v28, v26
	v_mul_f32_e32 v28, v27, v26
	v_fma_f32 v29, -v25, v28, v27
	v_fmac_f32_e32 v28, v29, v26
	v_fma_f32 v25, -v25, v28, v27
	v_div_fmas_f32 v25, v25, v26, v28
	v_div_fixup_f32 v24, v25, v70, v24
	.loc	1 195 27 is_stmt 1              ; cross_entropy_aot.py:195:27
	v_fmac_f32_e32 v24, v73, v24
	.loc	1 197 27                        ; cross_entropy_aot.py:197:27
	v_add_f32_e32 v24, v74, v24
	.loc	1 199 71                        ; cross_entropy_aot.py:199:71
	v_add_f32_e32 v25, -1.0, v24
	.loc	1 199 48 is_stmt 0              ; cross_entropy_aot.py:199:48
	v_cmp_eq_u64_e32 vcc, s[38:39], v[22:23]
	.loc	1 199 60                        ; cross_entropy_aot.py:199:60
	s_nop 1
	v_cndmask_b32_e32 v22, v24, v25, vcc
	.loc	1 202 40 is_stmt 1              ; cross_entropy_aot.py:202:40
	v_div_scale_f32 v23, s[8:9], v71, v71, v22
	v_rcp_f32_e32 v24, v23
	s_nop 0
	v_fma_f32 v25, -v23, v24, 1.0
	v_fmac_f32_e32 v24, v25, v24
	v_div_scale_f32 v25, vcc, v22, v71, v22
	v_mul_f32_e32 v26, v25, v24
	v_fma_f32 v27, -v23, v26, v25
	v_fmac_f32_e32 v26, v27, v24
	v_fma_f32 v23, -v23, v26, v25
	v_div_fmas_f32 v23, v23, v24, v26
	v_div_fixup_f32 v22, v23, v71, v22
	.loc	1 229 40                        ; cross_entropy_aot.py:229:40
	global_store_dword v[20:21], v22, off
	s_or_b64 exec, exec, s[10:11]
	s_and_saveexec_b64 s[8:9], s[6:7]
	s_cbranch_execz .LBB0_96
.LBB0_112:                              ;   in Loop: Header=BB0_52 Depth=1
	.loc	1 193 43                        ; cross_entropy_aot.py:193:43
	s_waitcnt vmcnt(0)
	v_sub_f32_e32 v20, v80, v69
	.loc	1 193 33 is_stmt 0              ; cross_entropy_aot.py:193:33
	v_mul_f32_e32 v21, 0x3fb8aa3b, v20
	v_cmp_gt_f32_e32 vcc, s46, v21
	s_nop 1
	v_cndmask_b32_e32 v21, 0, v75, vcc
	v_fmac_f32_e32 v21, 0x3fb8aa3b, v20
	v_exp_f32_e32 v20, v21
	v_cndmask_b32_e32 v21, 0, v76, vcc
	v_ldexp_f32 v20, v20, v21
	.loc	1 193 48                        ; cross_entropy_aot.py:193:48
	v_div_scale_f32 v21, s[6:7], v70, v70, v20
	v_rcp_f32_e32 v22, v21
	v_div_scale_f32 v23, vcc, v20, v70, v20
	v_fma_f32 v24, -v21, v22, 1.0
	v_fmac_f32_e32 v22, v24, v22
	v_mul_f32_e32 v24, v23, v22
	v_fma_f32 v25, -v21, v24, v23
	v_fmac_f32_e32 v24, v25, v22
	v_fma_f32 v21, -v21, v24, v23
	v_div_fmas_f32 v21, v21, v22, v24
	v_div_fixup_f32 v20, v21, v70, v20
	.loc	1 195 27 is_stmt 1              ; cross_entropy_aot.py:195:27
	v_fmac_f32_e32 v20, v73, v20
	.loc	1 197 27                        ; cross_entropy_aot.py:197:27
	v_add_f32_e32 v20, v74, v20
	.loc	1 199 71                        ; cross_entropy_aot.py:199:71
	v_add_f32_e32 v21, -1.0, v20
	.loc	1 199 48 is_stmt 0              ; cross_entropy_aot.py:199:48
	v_cmp_eq_u64_e32 vcc, s[38:39], v[18:19]
	.loc	1 199 60                        ; cross_entropy_aot.py:199:60
	s_nop 1
	v_cndmask_b32_e32 v18, v20, v21, vcc
	.loc	1 202 40 is_stmt 1              ; cross_entropy_aot.py:202:40
	v_div_scale_f32 v19, s[6:7], v71, v71, v18
	v_rcp_f32_e32 v20, v19
	s_nop 0
	v_fma_f32 v21, -v19, v20, 1.0
	v_fmac_f32_e32 v20, v21, v20
	v_div_scale_f32 v21, vcc, v18, v71, v18
	v_mul_f32_e32 v22, v21, v20
	v_fma_f32 v23, -v19, v22, v21
	v_fmac_f32_e32 v22, v23, v20
	v_fma_f32 v19, -v19, v22, v21
	v_div_fmas_f32 v19, v19, v20, v22
	v_div_fixup_f32 v18, v19, v71, v18
	.loc	1 229 40                        ; cross_entropy_aot.py:229:40
	global_store_dword v[16:17], v18, off
	s_or_b64 exec, exec, s[8:9]
	s_and_saveexec_b64 s[6:7], s[4:5]
	s_cbranch_execz .LBB0_97
.LBB0_113:                              ;   in Loop: Header=BB0_52 Depth=1
	.loc	1 193 43                        ; cross_entropy_aot.py:193:43
	s_waitcnt vmcnt(0)
	v_sub_f32_e32 v16, v79, v69
	.loc	1 193 33 is_stmt 0              ; cross_entropy_aot.py:193:33
	v_mul_f32_e32 v17, 0x3fb8aa3b, v16
	v_cmp_gt_f32_e32 vcc, s46, v17
	s_nop 1
	v_cndmask_b32_e32 v17, 0, v75, vcc
	v_fmac_f32_e32 v17, 0x3fb8aa3b, v16
	v_exp_f32_e32 v16, v17
	v_cndmask_b32_e32 v17, 0, v76, vcc
	v_ldexp_f32 v16, v16, v17
	.loc	1 193 48                        ; cross_entropy_aot.py:193:48
	v_div_scale_f32 v17, s[4:5], v70, v70, v16
	v_rcp_f32_e32 v18, v17
	v_div_scale_f32 v19, vcc, v16, v70, v16
	v_fma_f32 v20, -v17, v18, 1.0
	v_fmac_f32_e32 v18, v20, v18
	v_mul_f32_e32 v20, v19, v18
	v_fma_f32 v21, -v17, v20, v19
	v_fmac_f32_e32 v20, v21, v18
	v_fma_f32 v17, -v17, v20, v19
	v_div_fmas_f32 v17, v17, v18, v20
	v_div_fixup_f32 v16, v17, v70, v16
	.loc	1 195 27 is_stmt 1              ; cross_entropy_aot.py:195:27
	v_fmac_f32_e32 v16, v73, v16
	.loc	1 197 27                        ; cross_entropy_aot.py:197:27
	v_add_f32_e32 v16, v74, v16
	.loc	1 199 71                        ; cross_entropy_aot.py:199:71
	v_add_f32_e32 v17, -1.0, v16
	.loc	1 199 48 is_stmt 0              ; cross_entropy_aot.py:199:48
	v_cmp_eq_u64_e32 vcc, s[38:39], v[14:15]
	.loc	1 199 60                        ; cross_entropy_aot.py:199:60
	s_nop 1
	v_cndmask_b32_e32 v14, v16, v17, vcc
	.loc	1 202 40 is_stmt 1              ; cross_entropy_aot.py:202:40
	v_div_scale_f32 v15, s[4:5], v71, v71, v14
	v_rcp_f32_e32 v16, v15
	s_nop 0
	v_fma_f32 v17, -v15, v16, 1.0
	v_fmac_f32_e32 v16, v17, v16
	v_div_scale_f32 v17, vcc, v14, v71, v14
	v_mul_f32_e32 v18, v17, v16
	v_fma_f32 v19, -v15, v18, v17
	v_fmac_f32_e32 v18, v19, v16
	v_fma_f32 v15, -v15, v18, v17
	v_div_fmas_f32 v15, v15, v16, v18
	v_div_fixup_f32 v14, v15, v71, v14
	.loc	1 229 40                        ; cross_entropy_aot.py:229:40
	global_store_dword v[12:13], v14, off
	s_or_b64 exec, exec, s[6:7]
	s_and_saveexec_b64 s[4:5], s[2:3]
	s_cbranch_execz .LBB0_98
.LBB0_114:                              ;   in Loop: Header=BB0_52 Depth=1
	.loc	1 193 43                        ; cross_entropy_aot.py:193:43
	s_waitcnt vmcnt(0)
	v_sub_f32_e32 v12, v78, v69
	.loc	1 193 33 is_stmt 0              ; cross_entropy_aot.py:193:33
	v_mul_f32_e32 v13, 0x3fb8aa3b, v12
	v_cmp_gt_f32_e32 vcc, s46, v13
	s_nop 1
	v_cndmask_b32_e32 v13, 0, v75, vcc
	v_fmac_f32_e32 v13, 0x3fb8aa3b, v12
	v_exp_f32_e32 v12, v13
	v_cndmask_b32_e32 v13, 0, v76, vcc
	v_ldexp_f32 v12, v12, v13
	.loc	1 193 48                        ; cross_entropy_aot.py:193:48
	v_div_scale_f32 v13, s[2:3], v70, v70, v12
	v_rcp_f32_e32 v14, v13
	v_div_scale_f32 v15, vcc, v12, v70, v12
	v_fma_f32 v16, -v13, v14, 1.0
	v_fmac_f32_e32 v14, v16, v14
	v_mul_f32_e32 v16, v15, v14
	v_fma_f32 v17, -v13, v16, v15
	v_fmac_f32_e32 v16, v17, v14
	v_fma_f32 v13, -v13, v16, v15
	v_div_fmas_f32 v13, v13, v14, v16
	v_div_fixup_f32 v12, v13, v70, v12
	.loc	1 195 27 is_stmt 1              ; cross_entropy_aot.py:195:27
	v_fmac_f32_e32 v12, v73, v12
	.loc	1 197 27                        ; cross_entropy_aot.py:197:27
	v_add_f32_e32 v12, v74, v12
	.loc	1 199 71                        ; cross_entropy_aot.py:199:71
	v_add_f32_e32 v13, -1.0, v12
	.loc	1 199 48 is_stmt 0              ; cross_entropy_aot.py:199:48
	v_cmp_eq_u64_e32 vcc, s[38:39], v[10:11]
	.loc	1 199 60                        ; cross_entropy_aot.py:199:60
	s_nop 1
	v_cndmask_b32_e32 v10, v12, v13, vcc
	.loc	1 202 40 is_stmt 1              ; cross_entropy_aot.py:202:40
	v_div_scale_f32 v11, s[2:3], v71, v71, v10
	v_rcp_f32_e32 v12, v11
	s_nop 0
	v_fma_f32 v13, -v11, v12, 1.0
	v_fmac_f32_e32 v12, v13, v12
	v_div_scale_f32 v13, vcc, v10, v71, v10
	v_mul_f32_e32 v14, v13, v12
	v_fma_f32 v15, -v11, v14, v13
	v_fmac_f32_e32 v14, v15, v12
	v_fma_f32 v11, -v11, v14, v13
	v_div_fmas_f32 v11, v11, v12, v14
	v_div_fixup_f32 v10, v11, v71, v10
	.loc	1 229 40                        ; cross_entropy_aot.py:229:40
	global_store_dword v[8:9], v10, off
	s_or_b64 exec, exec, s[4:5]
	s_and_saveexec_b64 s[2:3], s[0:1]
	s_cbranch_execz .LBB0_51
.LBB0_115:                              ;   in Loop: Header=BB0_52 Depth=1
	.loc	1 193 43                        ; cross_entropy_aot.py:193:43
	s_waitcnt vmcnt(0)
	v_sub_f32_e32 v8, v77, v69
	.loc	1 193 33 is_stmt 0              ; cross_entropy_aot.py:193:33
	v_mul_f32_e32 v9, 0x3fb8aa3b, v8
	v_cmp_gt_f32_e32 vcc, s46, v9
	s_nop 1
	v_cndmask_b32_e32 v9, 0, v75, vcc
	v_fmac_f32_e32 v9, 0x3fb8aa3b, v8
	v_exp_f32_e32 v8, v9
	v_cndmask_b32_e32 v9, 0, v76, vcc
	v_ldexp_f32 v8, v8, v9
	.loc	1 193 48                        ; cross_entropy_aot.py:193:48
	v_div_scale_f32 v9, s[0:1], v70, v70, v8
	v_rcp_f32_e32 v10, v9
	v_div_scale_f32 v11, vcc, v8, v70, v8
	v_fma_f32 v12, -v9, v10, 1.0
	v_fmac_f32_e32 v10, v12, v10
	v_mul_f32_e32 v12, v11, v10
	v_fma_f32 v13, -v9, v12, v11
	v_fmac_f32_e32 v12, v13, v10
	v_fma_f32 v9, -v9, v12, v11
	v_div_fmas_f32 v9, v9, v10, v12
	v_div_fixup_f32 v8, v9, v70, v8
	.loc	1 195 27 is_stmt 1              ; cross_entropy_aot.py:195:27
	v_fmac_f32_e32 v8, v73, v8
	.loc	1 197 27                        ; cross_entropy_aot.py:197:27
	v_add_f32_e32 v8, v74, v8
	.loc	1 199 71                        ; cross_entropy_aot.py:199:71
	v_add_f32_e32 v9, -1.0, v8
	.loc	1 199 48 is_stmt 0              ; cross_entropy_aot.py:199:48
	v_cmp_eq_u64_e32 vcc, s[38:39], v[6:7]
	.loc	1 199 60                        ; cross_entropy_aot.py:199:60
	s_nop 1
	v_cndmask_b32_e32 v6, v8, v9, vcc
	.loc	1 202 40 is_stmt 1              ; cross_entropy_aot.py:202:40
	v_div_scale_f32 v7, s[0:1], v71, v71, v6
	v_rcp_f32_e32 v8, v7
	s_nop 0
	v_fma_f32 v9, -v7, v8, 1.0
	v_fmac_f32_e32 v8, v9, v8
	v_div_scale_f32 v9, vcc, v6, v71, v6
	v_mul_f32_e32 v10, v9, v8
	v_fma_f32 v11, -v7, v10, v9
	v_fmac_f32_e32 v10, v11, v8
	v_fma_f32 v7, -v7, v10, v9
	v_div_fmas_f32 v7, v7, v8, v10
	v_div_fixup_f32 v6, v7, v71, v6
	.loc	1 229 40                        ; cross_entropy_aot.py:229:40
	global_store_dword v[4:5], v6, off
	s_branch .LBB0_51
.LBB0_116:                              ; %._crit_edge24
	.loc	1 274 23                        ; cross_entropy_aot.py:274:23
	s_lshr_b32 s0, s33, 6
	v_or_b32_e32 v1, s0, v1
	v_cmp_eq_u32_e32 vcc, 0, v1
	.loc	1 233 4                         ; cross_entropy_aot.py:233:4
	s_barrier
	.loc	1 274 23                        ; cross_entropy_aot.py:274:23
	s_and_saveexec_b64 s[0:1], vcc
	s_xor_b64 s[0:1], exec, s[0:1]
	s_cbranch_execz .LBB0_118
; %bb.117:
	.loc	1 242 17                        ; cross_entropy_aot.py:242:17
	v_subrev_f32_e32 v1, s44, v72
	.loc	1 269 26                        ; cross_entropy_aot.py:269:26
	v_div_scale_f32 v2, s[4:5], v71, v71, v1
	v_rcp_f32_e32 v3, v2
	.loc	1 97 29                         ; cross_entropy_aot.py:97:29
	s_mul_hi_i32 s3, s45, s16
	s_mul_i32 s2, s45, s16
	.loc	1 97 16 is_stmt 0               ; cross_entropy_aot.py:97:16
	s_lshl_b64 s[2:3], s[2:3], 2
	.loc	1 269 26 is_stmt 1              ; cross_entropy_aot.py:269:26
	v_fma_f32 v5, -v2, v3, 1.0
	v_fmac_f32_e32 v3, v5, v3
	v_div_scale_f32 v5, vcc, v1, v71, v1
	v_mul_f32_e32 v6, v5, v3
	v_fma_f32 v7, -v2, v6, v5
	v_fmac_f32_e32 v6, v7, v3
	v_fma_f32 v2, -v2, v6, v5
	.loc	1 263 38                        ; cross_entropy_aot.py:263:38
	v_mul_f32_e32 v5, v72, v73
	.loc	1 271 26                        ; cross_entropy_aot.py:271:26
	v_div_scale_f32 v7, s[4:5], v71, v71, v5
	v_rcp_f32_e32 v8, v7
	.loc	1 269 26                        ; cross_entropy_aot.py:269:26
	v_div_fmas_f32 v2, v2, v3, v6
	v_div_fixup_f32 v1, v2, v71, v1
	.loc	1 97 16                         ; cross_entropy_aot.py:97:16
	s_add_u32 s2, s12, s2
	.loc	1 271 26                        ; cross_entropy_aot.py:271:26
	v_fma_f32 v2, -v7, v8, 1.0
	v_fmac_f32_e32 v8, v2, v8
	v_div_scale_f32 v2, vcc, v5, v71, v5
	v_mul_f32_e32 v3, v2, v8
	v_fma_f32 v6, -v7, v3, v2
	v_fmac_f32_e32 v3, v6, v8
	v_fma_f32 v2, -v7, v3, v2
	v_div_fmas_f32 v2, v2, v8, v3
	v_div_fixup_f32 v2, v2, v71, v5
	.loc	1 97 16                         ; cross_entropy_aot.py:97:16
	s_addc_u32 s3, s13, s3
	v_mov_b32_e32 v4, 0
	.loc	1 272 12                        ; cross_entropy_aot.py:272:12
	v_add_f32_e32 v1, v1, v2
	.loc	1 274 23                        ; cross_entropy_aot.py:274:23
	global_store_dword v4, v1, s[2:3]
.LBB0_118:                              ; %Flow
	.loc	1 0 23 is_stmt 0                ; cross_entropy_aot.py:0:23
	s_or_b64 exec, exec, s[0:1]
	s_mov_b64 s[2:3], 0
.LBB0_119:                              ; %Flow12
	s_and_b64 vcc, exec, s[2:3]
	s_cbranch_vccz .LBB0_155
; %bb.120:
	.loc	1 85 34 is_stmt 1               ; cross_entropy_aot.py:85:34
	s_cmp_lt_i32 s17, 1
	s_cbranch_scc1 .LBB0_155
; %bb.121:                              ; %.lr.ph26.preheader
	.loc	1 86 41                         ; cross_entropy_aot.py:86:41
	s_and_b32 s0, s33, 0x1c0
	.loc	1 87 40                         ; cross_entropy_aot.py:87:40
	v_and_or_b32 v4, v0, 63, s0
	s_mov_b32 s2, 0
	v_mov_b32_e32 v5, 0
	s_branch .LBB0_123
.LBB0_122:                              ;   in Loop: Header=BB0_123 Depth=1
	.loc	1 0 40 is_stmt 0                ; cross_entropy_aot.py:0:40
	s_or_b64 exec, exec, s[0:1]
	.loc	1 85 34 is_stmt 1               ; cross_entropy_aot.py:85:34
	s_addk_i32 s2, 0x2000
	s_cmp_ge_i32 s2, s17
	s_cbranch_scc1 .LBB0_155
.LBB0_123:                              ; %.lr.ph26
                                        ; =>This Inner Loop Header: Depth=1
	.loc	1 86 28                         ; cross_entropy_aot.py:86:28
	v_add_u32_e32 v0, s2, v4
	.loc	1 87 29                         ; cross_entropy_aot.py:87:29
	v_ashrrev_i32_e32 v1, 31, v0
	.loc	1 87 62 is_stmt 0               ; cross_entropy_aot.py:87:62
	v_cmp_gt_i32_e32 vcc, s17, v0
	.loc	1 87 29                         ; cross_entropy_aot.py:87:29
	v_lshl_add_u64 v[2:3], v[0:1], 2, s[36:37]
	.loc	1 87 40                         ; cross_entropy_aot.py:87:40
	s_and_saveexec_b64 s[0:1], vcc
	s_cbranch_execz .LBB0_125
; %bb.124:                              ;   in Loop: Header=BB0_123 Depth=1
	global_store_dword v[2:3], v5, off
.LBB0_125:                              ;   in Loop: Header=BB0_123 Depth=1
	.loc	1 0 40                          ; cross_entropy_aot.py:0:40
	s_or_b64 exec, exec, s[0:1]
	.loc	1 86 28 is_stmt 1               ; cross_entropy_aot.py:86:28
	v_add_u32_e32 v1, 0x200, v0
	.loc	1 87 62                         ; cross_entropy_aot.py:87:62
	v_cmp_gt_i32_e32 vcc, s17, v1
	.loc	1 87 40 is_stmt 0               ; cross_entropy_aot.py:87:40
	s_and_saveexec_b64 s[0:1], vcc
	s_cbranch_execz .LBB0_127
; %bb.126:                              ;   in Loop: Header=BB0_123 Depth=1
	global_store_dword v[2:3], v5, off offset:2048
.LBB0_127:                              ;   in Loop: Header=BB0_123 Depth=1
	.loc	1 0 40                          ; cross_entropy_aot.py:0:40
	s_or_b64 exec, exec, s[0:1]
	.loc	1 86 28 is_stmt 1               ; cross_entropy_aot.py:86:28
	v_add_u32_e32 v2, 0x400, v0
	.loc	1 87 62                         ; cross_entropy_aot.py:87:62
	v_cmp_gt_i32_e32 vcc, s17, v2
	.loc	1 87 40 is_stmt 0               ; cross_entropy_aot.py:87:40
	s_and_saveexec_b64 s[0:1], vcc
	s_cbranch_execz .LBB0_129
; %bb.128:                              ;   in Loop: Header=BB0_123 Depth=1
	.loc	1 87 29                         ; cross_entropy_aot.py:87:29
	v_ashrrev_i32_e32 v3, 31, v2
	v_lshl_add_u64 v[2:3], v[2:3], 2, s[36:37]
	.loc	1 87 40                         ; cross_entropy_aot.py:87:40
	global_store_dword v[2:3], v5, off
.LBB0_129:                              ;   in Loop: Header=BB0_123 Depth=1
	.loc	1 0 40                          ; cross_entropy_aot.py:0:40
	s_or_b64 exec, exec, s[0:1]
	.loc	1 86 28 is_stmt 1               ; cross_entropy_aot.py:86:28
	v_add_u32_e32 v2, 0x600, v0
	.loc	1 87 62                         ; cross_entropy_aot.py:87:62
	v_cmp_gt_i32_e32 vcc, s17, v2
	.loc	1 87 40 is_stmt 0               ; cross_entropy_aot.py:87:40
	s_and_saveexec_b64 s[0:1], vcc
	s_cbranch_execz .LBB0_131
; %bb.130:                              ;   in Loop: Header=BB0_123 Depth=1
	.loc	1 87 29                         ; cross_entropy_aot.py:87:29
	v_ashrrev_i32_e32 v3, 31, v2
	v_lshl_add_u64 v[2:3], v[2:3], 2, s[36:37]
	.loc	1 87 40                         ; cross_entropy_aot.py:87:40
	global_store_dword v[2:3], v5, off
.LBB0_131:                              ;   in Loop: Header=BB0_123 Depth=1
	;; [unrolled: 16-line block ×13, first 2 shown]
	.loc	1 0 40                          ; cross_entropy_aot.py:0:40
	s_or_b64 exec, exec, s[0:1]
	.loc	1 87 62                         ; cross_entropy_aot.py:87:62
	v_add_u32_e32 v0, 0x1e00, v0
	v_cmp_gt_i32_e32 vcc, s17, v0
	.loc	1 87 40                         ; cross_entropy_aot.py:87:40
	s_and_saveexec_b64 s[0:1], vcc
	s_cbranch_execz .LBB0_122
; %bb.154:                              ;   in Loop: Header=BB0_123 Depth=1
	.loc	1 87 29                         ; cross_entropy_aot.py:87:29
	v_ashrrev_i32_e32 v1, 31, v0
	v_lshl_add_u64 v[0:1], v[0:1], 2, s[36:37]
	.loc	1 87 40                         ; cross_entropy_aot.py:87:40
	global_store_dword v[0:1], v5, off
	s_branch .LBB0_122
.LBB0_155:                              ; %.loopexit
	.loc	1 95 8 is_stmt 1                ; cross_entropy_aot.py:95:8
	s_endpgm
.Ltmp54:
	.section	.rodata,"a",@progbits
	.p2align	6, 0x0
	.amdhsa_kernel liger_cross_entropy_kernel
		.amdhsa_group_segment_fixed_size 0
		.amdhsa_private_segment_fixed_size 0
		.amdhsa_kernarg_size 136
		.amdhsa_user_sgpr_count 16
		.amdhsa_user_sgpr_dispatch_ptr 0
		.amdhsa_user_sgpr_queue_ptr 0
		.amdhsa_user_sgpr_kernarg_segment_ptr 1
		.amdhsa_user_sgpr_dispatch_id 0
		.amdhsa_user_sgpr_kernarg_preload_length 14
		.amdhsa_user_sgpr_kernarg_preload_offset 0
		.amdhsa_user_sgpr_private_segment_size 0
		.amdhsa_uses_dynamic_stack 0
		.amdhsa_enable_private_segment 0
		.amdhsa_system_sgpr_workgroup_id_x 1
		.amdhsa_system_sgpr_workgroup_id_y 0
		.amdhsa_system_sgpr_workgroup_id_z 0
		.amdhsa_system_sgpr_workgroup_info 0
		.amdhsa_system_vgpr_workitem_id 0
		.amdhsa_next_free_vgpr 97
		.amdhsa_next_free_sgpr 50
		.amdhsa_accum_offset 100
		.amdhsa_reserve_vcc 1
		.amdhsa_reserve_xnack_mask 1
		.amdhsa_float_round_mode_32 0
		.amdhsa_float_round_mode_16_64 0
		.amdhsa_float_denorm_mode_32 3
		.amdhsa_float_denorm_mode_16_64 3
		.amdhsa_dx10_clamp 1
		.amdhsa_ieee_mode 1
		.amdhsa_fp16_overflow 0
		.amdhsa_tg_split 0
		.amdhsa_exception_fp_ieee_invalid_op 0
		.amdhsa_exception_fp_denorm_src 0
		.amdhsa_exception_fp_ieee_div_zero 0
		.amdhsa_exception_fp_ieee_overflow 0
		.amdhsa_exception_fp_ieee_underflow 0
		.amdhsa_exception_fp_ieee_inexact 0
		.amdhsa_exception_int_div_zero 0
	.end_amdhsa_kernel
	.text
.Lfunc_end0:
	.size	liger_cross_entropy_kernel, .Lfunc_end0-liger_cross_entropy_kernel
	.cfi_endproc
                                        ; -- End function
	.set liger_cross_entropy_kernel.num_vgpr, 97
	.set liger_cross_entropy_kernel.num_agpr, 0
	.set liger_cross_entropy_kernel.numbered_sgpr, 50
	.set liger_cross_entropy_kernel.num_named_barrier, 0
	.set liger_cross_entropy_kernel.private_seg_size, 0
	.set liger_cross_entropy_kernel.uses_vcc, 1
	.set liger_cross_entropy_kernel.uses_flat_scratch, 0
	.set liger_cross_entropy_kernel.has_dyn_sized_stack, 0
	.set liger_cross_entropy_kernel.has_recursion, 0
	.set liger_cross_entropy_kernel.has_indirect_call, 0
	.section	.AMDGPU.csdata,"",@progbits
; Kernel info:
; codeLenInByte = 9340
; TotalNumSgprs: 56
; NumVgprs: 97
; NumAgprs: 0
; TotalNumVgprs: 97
; ScratchSize: 0
; MemoryBound: 0
; FloatMode: 240
; IeeeMode: 1
; LDSByteSize: 0 bytes/workgroup (compile time only)
; SGPRBlocks: 6
; VGPRBlocks: 12
; NumSGPRsForWavesPerEU: 56
; NumVGPRsForWavesPerEU: 97
; AccumOffset: 100
; Occupancy: 4
; WaveLimiterHint : 1
; COMPUTE_PGM_RSRC2:SCRATCH_EN: 0
; COMPUTE_PGM_RSRC2:USER_SGPR: 16
; COMPUTE_PGM_RSRC2:TRAP_HANDLER: 0
; COMPUTE_PGM_RSRC2:TGID_X_EN: 1
; COMPUTE_PGM_RSRC2:TGID_Y_EN: 0
; COMPUTE_PGM_RSRC2:TGID_Z_EN: 0
; COMPUTE_PGM_RSRC2:TIDIG_COMP_CNT: 0
; COMPUTE_PGM_RSRC3_GFX90A:ACCUM_OFFSET: 24
; COMPUTE_PGM_RSRC3_GFX90A:TG_SPLIT: 0
	.text
	.p2alignl 6, 3212836864
	.fill 256, 4, 3212836864
	.section	.AMDGPU.gpr_maximums,"",@progbits
	.set amdgpu.max_num_vgpr, 0
	.set amdgpu.max_num_agpr, 0
	.set amdgpu.max_num_sgpr, 0
	.set amdgpu.max_num_named_barrier, 0
	.text
	.section	.debug_abbrev,"",@progbits
	.byte	1                               ; Abbreviation Code
	.byte	17                              ; DW_TAG_compile_unit
	.byte	1                               ; DW_CHILDREN_yes
	.byte	37                              ; DW_AT_producer
	.byte	14                              ; DW_FORM_strp
	.byte	19                              ; DW_AT_language
	.byte	5                               ; DW_FORM_data2
	.byte	3                               ; DW_AT_name
	.byte	14                              ; DW_FORM_strp
	.byte	16                              ; DW_AT_stmt_list
	.byte	23                              ; DW_FORM_sec_offset
	.byte	27                              ; DW_AT_comp_dir
	.byte	14                              ; DW_FORM_strp
	.byte	17                              ; DW_AT_low_pc
	.byte	1                               ; DW_FORM_addr
	.byte	18                              ; DW_AT_high_pc
	.byte	6                               ; DW_FORM_data4
	.byte	0                               ; EOM(1)
	.byte	0                               ; EOM(2)
	.byte	2                               ; Abbreviation Code
	.byte	46                              ; DW_TAG_subprogram
	.byte	0                               ; DW_CHILDREN_no
	.byte	3                               ; DW_AT_name
	.byte	14                              ; DW_FORM_strp
	.byte	32                              ; DW_AT_inline
	.byte	11                              ; DW_FORM_data1
	.byte	0                               ; EOM(1)
	.byte	0                               ; EOM(2)
	.byte	3                               ; Abbreviation Code
	.byte	46                              ; DW_TAG_subprogram
	.byte	1                               ; DW_CHILDREN_yes
	.byte	17                              ; DW_AT_low_pc
	.byte	1                               ; DW_FORM_addr
	.byte	18                              ; DW_AT_high_pc
	.byte	6                               ; DW_FORM_data4
	.byte	49                              ; DW_AT_abstract_origin
	.byte	19                              ; DW_FORM_ref4
	.byte	0                               ; EOM(1)
	.byte	0                               ; EOM(2)
	.byte	4                               ; Abbreviation Code
	.byte	29                              ; DW_TAG_inlined_subroutine
	.byte	1                               ; DW_CHILDREN_yes
	.byte	49                              ; DW_AT_abstract_origin
	.byte	19                              ; DW_FORM_ref4
	.byte	85                              ; DW_AT_ranges
	.byte	23                              ; DW_FORM_sec_offset
	.byte	88                              ; DW_AT_call_file
	.byte	11                              ; DW_FORM_data1
	.byte	89                              ; DW_AT_call_line
	.byte	11                              ; DW_FORM_data1
	.byte	87                              ; DW_AT_call_column
	.byte	11                              ; DW_FORM_data1
	.byte	0                               ; EOM(1)
	.byte	0                               ; EOM(2)
	.byte	5                               ; Abbreviation Code
	.byte	29                              ; DW_TAG_inlined_subroutine
	.byte	0                               ; DW_CHILDREN_no
	.byte	49                              ; DW_AT_abstract_origin
	.byte	19                              ; DW_FORM_ref4
	.byte	85                              ; DW_AT_ranges
	.byte	23                              ; DW_FORM_sec_offset
	.byte	88                              ; DW_AT_call_file
	.byte	11                              ; DW_FORM_data1
	.byte	89                              ; DW_AT_call_line
	.byte	5                               ; DW_FORM_data2
	.byte	87                              ; DW_AT_call_column
	.byte	11                              ; DW_FORM_data1
	.byte	0                               ; EOM(1)
	.byte	0                               ; EOM(2)
	.byte	6                               ; Abbreviation Code
	.byte	29                              ; DW_TAG_inlined_subroutine
	.byte	0                               ; DW_CHILDREN_no
	.byte	49                              ; DW_AT_abstract_origin
	.byte	19                              ; DW_FORM_ref4
	.byte	85                              ; DW_AT_ranges
	.byte	23                              ; DW_FORM_sec_offset
	.byte	88                              ; DW_AT_call_file
	.byte	11                              ; DW_FORM_data1
	.byte	89                              ; DW_AT_call_line
	.byte	11                              ; DW_FORM_data1
	.byte	87                              ; DW_AT_call_column
	.byte	11                              ; DW_FORM_data1
	.byte	0                               ; EOM(1)
	.byte	0                               ; EOM(2)
	;; [unrolled: 1-line block ×3, first 2 shown]
	.section	.debug_info,"",@progbits
.Lcu_begin0:
	.long	.Ldebug_info_end0-.Ldebug_info_start0 ; Length of Unit
.Ldebug_info_start0:
	.short	4                               ; DWARF version number
	.long	.debug_abbrev                   ; Offset Into Abbrev. Section
	.byte	8                               ; Address Size (in bytes)
	.byte	1                               ; Abbrev [1] 0xb:0x6b DW_TAG_compile_unit
	.long	.Linfo_string0                  ; DW_AT_producer
	.short	2                               ; DW_AT_language
	.long	.Linfo_string1                  ; DW_AT_name
	.long	.Lline_table_start0             ; DW_AT_stmt_list
	.long	.Linfo_string2                  ; DW_AT_comp_dir
	.quad	.Lfunc_begin0                   ; DW_AT_low_pc
	.long	.Lfunc_end0-.Lfunc_begin0       ; DW_AT_high_pc
	.byte	2                               ; Abbrev [2] 0x2a:0x6 DW_TAG_subprogram
	.long	.Linfo_string3                  ; DW_AT_name
	.byte	1                               ; DW_AT_inline
	.byte	3                               ; Abbrev [3] 0x30:0x45 DW_TAG_subprogram
	.quad	.Lfunc_begin0                   ; DW_AT_low_pc
	.long	.Lfunc_end0-.Lfunc_begin0       ; DW_AT_high_pc
	.long	42                              ; DW_AT_abstract_origin
	.byte	4                               ; Abbrev [4] 0x41:0x1a DW_TAG_inlined_subroutine
	.long	42                              ; DW_AT_abstract_origin
	.long	.Ldebug_ranges0                 ; DW_AT_ranges
	.byte	1                               ; DW_AT_call_file
	.byte	156                             ; DW_AT_call_line
	.byte	43                              ; DW_AT_call_column
	.byte	5                               ; Abbrev [5] 0x4d:0xd DW_TAG_inlined_subroutine
	.long	42                              ; DW_AT_abstract_origin
	.long	.Ldebug_ranges1                 ; DW_AT_ranges
	.byte	2                               ; DW_AT_call_file
	.short	293                             ; DW_AT_call_line
	.byte	36                              ; DW_AT_call_column
	.byte	0                               ; End Of Children Mark
	.byte	4                               ; Abbrev [4] 0x5b:0x19 DW_TAG_inlined_subroutine
	.long	42                              ; DW_AT_abstract_origin
	.long	.Ldebug_ranges2                 ; DW_AT_ranges
	.byte	1                               ; DW_AT_call_file
	.byte	134                             ; DW_AT_call_line
	.byte	27                              ; DW_AT_call_column
	.byte	6                               ; Abbrev [6] 0x67:0xc DW_TAG_inlined_subroutine
	.long	42                              ; DW_AT_abstract_origin
	.long	.Ldebug_ranges3                 ; DW_AT_ranges
	.byte	2                               ; DW_AT_call_file
	.byte	191                             ; DW_AT_call_line
	.byte	40                              ; DW_AT_call_column
	.byte	0                               ; End Of Children Mark
	.byte	0                               ; End Of Children Mark
	;; [unrolled: 1-line block ×3, first 2 shown]
.Ldebug_info_end0:
	.section	.debug_ranges,"",@progbits
.Ldebug_ranges0:
	.quad	.Ltmp2-.Lfunc_begin0
	.quad	.Ltmp3-.Lfunc_begin0
	;; [unrolled: 1-line block ×24, first 2 shown]
	.quad	0
	.quad	0
.Ldebug_ranges1:
	.quad	.Ltmp29-.Lfunc_begin0
	.quad	.Ltmp30-.Lfunc_begin0
	.quad	.Ltmp31-.Lfunc_begin0
	.quad	.Ltmp32-.Lfunc_begin0
	.quad	.Ltmp33-.Lfunc_begin0
	.quad	.Ltmp34-.Lfunc_begin0
	.quad	.Ltmp35-.Lfunc_begin0
	.quad	.Ltmp36-.Lfunc_begin0
	.quad	.Ltmp37-.Lfunc_begin0
	.quad	.Ltmp38-.Lfunc_begin0
	.quad	.Ltmp39-.Lfunc_begin0
	.quad	.Ltmp40-.Lfunc_begin0
	.quad	.Ltmp41-.Lfunc_begin0
	.quad	.Ltmp42-.Lfunc_begin0
	.quad	.Ltmp43-.Lfunc_begin0
	.quad	.Ltmp44-.Lfunc_begin0
	.quad	.Ltmp45-.Lfunc_begin0
	.quad	.Ltmp46-.Lfunc_begin0
	.quad	.Ltmp49-.Lfunc_begin0
	.quad	.Ltmp50-.Lfunc_begin0
	.quad	.Ltmp51-.Lfunc_begin0
	.quad	.Ltmp52-.Lfunc_begin0
	.quad	0
	.quad	0
.Ldebug_ranges2:
	.quad	.Ltmp6-.Lfunc_begin0
	.quad	.Ltmp20-.Lfunc_begin0
	;; [unrolled: 1-line block ×4, first 2 shown]
	.quad	0
	.quad	0
.Ldebug_ranges3:
	.quad	.Ltmp6-.Lfunc_begin0
	.quad	.Ltmp7-.Lfunc_begin0
	;; [unrolled: 1-line block ×18, first 2 shown]
	.quad	0
	.quad	0
	.section	.debug_str,"MS",@progbits,1
.Linfo_string0:
	.asciz	"triton"                        ; string offset=0
.Linfo_string1:
	.asciz	"cross_entropy_aot.py"          ; string offset=7
.Linfo_string2:
	.asciz	"/root/src/amdgpu-assembly/repos/linkedin__Liger-Kernel/triton_aot_kernels" ; string offset=28
.Linfo_string3:
	.asciz	"liger_cross_entropy_kernel"    ; string offset=102
	.section	".note.GNU-stack","",@progbits
	.amdgpu_metadata
---
amdhsa.kernels:
  - .agpr_count:     0
    .args:
      - .address_space:  global
        .offset:         0
        .size:           8
        .value_kind:     global_buffer
      - .offset:         8
        .size:           4
        .value_kind:     by_value
      - .address_space:  global
        .offset:         16
        .size:           8
        .value_kind:     global_buffer
      - .offset:         24
        .size:           4
        .value_kind:     by_value
      - .address_space:  global
        .offset:         32
        .size:           8
        .value_kind:     global_buffer
      - .address_space:  global
        .offset:         40
        .size:           8
        .value_kind:     global_buffer
      - .address_space:  global
        .offset:         48
        .size:           8
        .value_kind:     global_buffer
      - .offset:         56
        .size:           4
        .value_kind:     by_value
      - .address_space:  global
        .offset:         64
        .size:           8
        .value_kind:     global_buffer
      - .offset:         72
        .size:           4
        .value_kind:     by_value
      - .address_space:  global
        .offset:         80
        .size:           8
        .value_kind:     global_buffer
      - .offset:         88
        .size:           4
        .value_kind:     by_value
      - .offset:         92
        .size:           4
        .value_kind:     by_value
      - .offset:         96
        .size:           4
        .value_kind:     by_value
      - .offset:         100
        .size:           4
        .value_kind:     by_value
      - .offset:         104
        .size:           4
        .value_kind:     by_value
      - .offset:         108
        .size:           4
        .value_kind:     by_value
      - .offset:         112
        .size:           4
        .value_kind:     by_value
      - .address_space:  global
        .offset:         120
        .size:           8
        .value_kind:     global_buffer
      - .address_space:  global
        .offset:         128
        .size:           8
        .value_kind:     global_buffer
    .group_segment_fixed_size: 0
    .kernarg_segment_align: 8
    .kernarg_segment_size: 136
    .max_flat_workgroup_size: 512
    .name:           liger_cross_entropy_kernel
    .private_segment_fixed_size: 0
    .sgpr_count:     56
    .sgpr_spill_count: 0
    .symbol:         liger_cross_entropy_kernel.kd
    .uniform_work_group_size: 1
    .uses_dynamic_stack: false
    .vgpr_count:     97
    .vgpr_spill_count: 0
    .wavefront_size: 64
amdhsa.target:   amdgcn-amd-amdhsa--gfx950
amdhsa.version:
  - 1
  - 2
...

	.end_amdgpu_metadata
	.section	.debug_line,"",@progbits
.Lline_table_start0:
